;; amdgpu-corpus repo=ROCm/rocFFT kind=compiled arch=gfx1201 opt=O3
	.text
	.amdgcn_target "amdgcn-amd-amdhsa--gfx1201"
	.amdhsa_code_object_version 6
	.protected	fft_rtc_fwd_len1925_factors_7_11_5_5_wgs_55_tpt_55_halfLds_dp_ip_CI_sbrr_dirReg ; -- Begin function fft_rtc_fwd_len1925_factors_7_11_5_5_wgs_55_tpt_55_halfLds_dp_ip_CI_sbrr_dirReg
	.globl	fft_rtc_fwd_len1925_factors_7_11_5_5_wgs_55_tpt_55_halfLds_dp_ip_CI_sbrr_dirReg
	.p2align	8
	.type	fft_rtc_fwd_len1925_factors_7_11_5_5_wgs_55_tpt_55_halfLds_dp_ip_CI_sbrr_dirReg,@function
fft_rtc_fwd_len1925_factors_7_11_5_5_wgs_55_tpt_55_halfLds_dp_ip_CI_sbrr_dirReg: ; @fft_rtc_fwd_len1925_factors_7_11_5_5_wgs_55_tpt_55_halfLds_dp_ip_CI_sbrr_dirReg
; %bb.0:
	s_clause 0x2
	s_load_b64 s[12:13], s[0:1], 0x18
	s_load_b128 s[4:7], s[0:1], 0x0
	s_load_b64 s[10:11], s[0:1], 0x50
	v_mul_u32_u24_e32 v1, 0x4a8, v0
	v_mov_b32_e32 v3, 0
	s_delay_alu instid0(VALU_DEP_2) | instskip(NEXT) | instid1(VALU_DEP_1)
	v_lshrrev_b32_e32 v1, 16, v1
	v_add_nc_u32_e32 v5, ttmp9, v1
	v_mov_b32_e32 v1, 0
	v_mov_b32_e32 v2, 0
	;; [unrolled: 1-line block ×3, first 2 shown]
	s_wait_kmcnt 0x0
	s_load_b64 s[8:9], s[12:13], 0x0
	v_cmp_lt_u64_e64 s2, s[6:7], 2
	s_delay_alu instid0(VALU_DEP_1)
	s_and_b32 vcc_lo, exec_lo, s2
	s_cbranch_vccnz .LBB0_8
; %bb.1:
	s_load_b64 s[2:3], s[0:1], 0x10
	v_mov_b32_e32 v1, 0
	v_mov_b32_e32 v2, 0
	s_add_nc_u64 s[14:15], s[12:13], 8
	s_mov_b64 s[16:17], 1
	s_wait_kmcnt 0x0
	s_add_nc_u64 s[18:19], s[2:3], 8
	s_mov_b32 s3, 0
.LBB0_2:                                ; =>This Inner Loop Header: Depth=1
	s_load_b64 s[20:21], s[18:19], 0x0
                                        ; implicit-def: $vgpr7_vgpr8
	s_mov_b32 s2, exec_lo
	s_wait_kmcnt 0x0
	v_or_b32_e32 v4, s21, v6
	s_delay_alu instid0(VALU_DEP_1)
	v_cmpx_ne_u64_e32 0, v[3:4]
	s_wait_alu 0xfffe
	s_xor_b32 s22, exec_lo, s2
	s_cbranch_execz .LBB0_4
; %bb.3:                                ;   in Loop: Header=BB0_2 Depth=1
	s_cvt_f32_u32 s2, s20
	s_cvt_f32_u32 s23, s21
	s_sub_nc_u64 s[26:27], 0, s[20:21]
	s_wait_alu 0xfffe
	s_delay_alu instid0(SALU_CYCLE_1) | instskip(SKIP_1) | instid1(SALU_CYCLE_2)
	s_fmamk_f32 s2, s23, 0x4f800000, s2
	s_wait_alu 0xfffe
	v_s_rcp_f32 s2, s2
	s_delay_alu instid0(TRANS32_DEP_1) | instskip(SKIP_1) | instid1(SALU_CYCLE_2)
	s_mul_f32 s2, s2, 0x5f7ffffc
	s_wait_alu 0xfffe
	s_mul_f32 s23, s2, 0x2f800000
	s_wait_alu 0xfffe
	s_delay_alu instid0(SALU_CYCLE_2) | instskip(SKIP_1) | instid1(SALU_CYCLE_2)
	s_trunc_f32 s23, s23
	s_wait_alu 0xfffe
	s_fmamk_f32 s2, s23, 0xcf800000, s2
	s_cvt_u32_f32 s25, s23
	s_wait_alu 0xfffe
	s_delay_alu instid0(SALU_CYCLE_1) | instskip(SKIP_1) | instid1(SALU_CYCLE_2)
	s_cvt_u32_f32 s24, s2
	s_wait_alu 0xfffe
	s_mul_u64 s[28:29], s[26:27], s[24:25]
	s_wait_alu 0xfffe
	s_mul_hi_u32 s31, s24, s29
	s_mul_i32 s30, s24, s29
	s_mul_hi_u32 s2, s24, s28
	s_mul_i32 s33, s25, s28
	s_wait_alu 0xfffe
	s_add_nc_u64 s[30:31], s[2:3], s[30:31]
	s_mul_hi_u32 s23, s25, s28
	s_mul_hi_u32 s34, s25, s29
	s_add_co_u32 s2, s30, s33
	s_wait_alu 0xfffe
	s_add_co_ci_u32 s2, s31, s23
	s_mul_i32 s28, s25, s29
	s_add_co_ci_u32 s29, s34, 0
	s_wait_alu 0xfffe
	s_add_nc_u64 s[28:29], s[2:3], s[28:29]
	s_wait_alu 0xfffe
	v_add_co_u32 v4, s2, s24, s28
	s_delay_alu instid0(VALU_DEP_1) | instskip(SKIP_1) | instid1(VALU_DEP_1)
	s_cmp_lg_u32 s2, 0
	s_add_co_ci_u32 s25, s25, s29
	v_readfirstlane_b32 s24, v4
	s_wait_alu 0xfffe
	s_delay_alu instid0(VALU_DEP_1)
	s_mul_u64 s[26:27], s[26:27], s[24:25]
	s_wait_alu 0xfffe
	s_mul_hi_u32 s29, s24, s27
	s_mul_i32 s28, s24, s27
	s_mul_hi_u32 s2, s24, s26
	s_mul_i32 s30, s25, s26
	s_wait_alu 0xfffe
	s_add_nc_u64 s[28:29], s[2:3], s[28:29]
	s_mul_hi_u32 s23, s25, s26
	s_mul_hi_u32 s24, s25, s27
	s_wait_alu 0xfffe
	s_add_co_u32 s2, s28, s30
	s_add_co_ci_u32 s2, s29, s23
	s_mul_i32 s26, s25, s27
	s_add_co_ci_u32 s27, s24, 0
	s_wait_alu 0xfffe
	s_add_nc_u64 s[26:27], s[2:3], s[26:27]
	s_wait_alu 0xfffe
	v_add_co_u32 v4, s2, v4, s26
	s_delay_alu instid0(VALU_DEP_1) | instskip(SKIP_1) | instid1(VALU_DEP_1)
	s_cmp_lg_u32 s2, 0
	s_add_co_ci_u32 s2, s25, s27
	v_mul_hi_u32 v13, v5, v4
	s_wait_alu 0xfffe
	v_mad_co_u64_u32 v[7:8], null, v5, s2, 0
	v_mad_co_u64_u32 v[9:10], null, v6, v4, 0
	;; [unrolled: 1-line block ×3, first 2 shown]
	s_delay_alu instid0(VALU_DEP_3) | instskip(SKIP_1) | instid1(VALU_DEP_4)
	v_add_co_u32 v4, vcc_lo, v13, v7
	s_wait_alu 0xfffd
	v_add_co_ci_u32_e32 v7, vcc_lo, 0, v8, vcc_lo
	s_delay_alu instid0(VALU_DEP_2) | instskip(SKIP_1) | instid1(VALU_DEP_2)
	v_add_co_u32 v4, vcc_lo, v4, v9
	s_wait_alu 0xfffd
	v_add_co_ci_u32_e32 v4, vcc_lo, v7, v10, vcc_lo
	s_wait_alu 0xfffd
	v_add_co_ci_u32_e32 v7, vcc_lo, 0, v12, vcc_lo
	s_delay_alu instid0(VALU_DEP_2) | instskip(SKIP_1) | instid1(VALU_DEP_2)
	v_add_co_u32 v4, vcc_lo, v4, v11
	s_wait_alu 0xfffd
	v_add_co_ci_u32_e32 v9, vcc_lo, 0, v7, vcc_lo
	s_delay_alu instid0(VALU_DEP_2) | instskip(SKIP_1) | instid1(VALU_DEP_3)
	v_mul_lo_u32 v10, s21, v4
	v_mad_co_u64_u32 v[7:8], null, s20, v4, 0
	v_mul_lo_u32 v11, s20, v9
	s_delay_alu instid0(VALU_DEP_2) | instskip(NEXT) | instid1(VALU_DEP_2)
	v_sub_co_u32 v7, vcc_lo, v5, v7
	v_add3_u32 v8, v8, v11, v10
	s_delay_alu instid0(VALU_DEP_1) | instskip(SKIP_1) | instid1(VALU_DEP_1)
	v_sub_nc_u32_e32 v10, v6, v8
	s_wait_alu 0xfffd
	v_subrev_co_ci_u32_e64 v10, s2, s21, v10, vcc_lo
	v_add_co_u32 v11, s2, v4, 2
	s_wait_alu 0xf1ff
	v_add_co_ci_u32_e64 v12, s2, 0, v9, s2
	v_sub_co_u32 v13, s2, v7, s20
	v_sub_co_ci_u32_e32 v8, vcc_lo, v6, v8, vcc_lo
	s_wait_alu 0xf1ff
	v_subrev_co_ci_u32_e64 v10, s2, 0, v10, s2
	s_delay_alu instid0(VALU_DEP_3) | instskip(NEXT) | instid1(VALU_DEP_3)
	v_cmp_le_u32_e32 vcc_lo, s20, v13
	v_cmp_eq_u32_e64 s2, s21, v8
	s_wait_alu 0xfffd
	v_cndmask_b32_e64 v13, 0, -1, vcc_lo
	v_cmp_le_u32_e32 vcc_lo, s21, v10
	s_wait_alu 0xfffd
	v_cndmask_b32_e64 v14, 0, -1, vcc_lo
	v_cmp_le_u32_e32 vcc_lo, s20, v7
	;; [unrolled: 3-line block ×3, first 2 shown]
	s_wait_alu 0xfffd
	v_cndmask_b32_e64 v15, 0, -1, vcc_lo
	v_cmp_eq_u32_e32 vcc_lo, s21, v10
	s_wait_alu 0xf1ff
	s_delay_alu instid0(VALU_DEP_2)
	v_cndmask_b32_e64 v7, v15, v7, s2
	s_wait_alu 0xfffd
	v_cndmask_b32_e32 v10, v14, v13, vcc_lo
	v_add_co_u32 v13, vcc_lo, v4, 1
	s_wait_alu 0xfffd
	v_add_co_ci_u32_e32 v14, vcc_lo, 0, v9, vcc_lo
	s_delay_alu instid0(VALU_DEP_3) | instskip(SKIP_2) | instid1(VALU_DEP_3)
	v_cmp_ne_u32_e32 vcc_lo, 0, v10
	s_wait_alu 0xfffd
	v_cndmask_b32_e32 v10, v13, v11, vcc_lo
	v_cndmask_b32_e32 v8, v14, v12, vcc_lo
	v_cmp_ne_u32_e32 vcc_lo, 0, v7
	s_wait_alu 0xfffd
	s_delay_alu instid0(VALU_DEP_2)
	v_dual_cndmask_b32 v7, v4, v10 :: v_dual_cndmask_b32 v8, v9, v8
.LBB0_4:                                ;   in Loop: Header=BB0_2 Depth=1
	s_wait_alu 0xfffe
	s_and_not1_saveexec_b32 s2, s22
	s_cbranch_execz .LBB0_6
; %bb.5:                                ;   in Loop: Header=BB0_2 Depth=1
	v_cvt_f32_u32_e32 v4, s20
	s_sub_co_i32 s22, 0, s20
	s_delay_alu instid0(VALU_DEP_1) | instskip(NEXT) | instid1(TRANS32_DEP_1)
	v_rcp_iflag_f32_e32 v4, v4
	v_mul_f32_e32 v4, 0x4f7ffffe, v4
	s_delay_alu instid0(VALU_DEP_1) | instskip(SKIP_1) | instid1(VALU_DEP_1)
	v_cvt_u32_f32_e32 v4, v4
	s_wait_alu 0xfffe
	v_mul_lo_u32 v7, s22, v4
	s_delay_alu instid0(VALU_DEP_1) | instskip(NEXT) | instid1(VALU_DEP_1)
	v_mul_hi_u32 v7, v4, v7
	v_add_nc_u32_e32 v4, v4, v7
	s_delay_alu instid0(VALU_DEP_1) | instskip(NEXT) | instid1(VALU_DEP_1)
	v_mul_hi_u32 v4, v5, v4
	v_mul_lo_u32 v7, v4, s20
	v_add_nc_u32_e32 v8, 1, v4
	s_delay_alu instid0(VALU_DEP_2) | instskip(NEXT) | instid1(VALU_DEP_1)
	v_sub_nc_u32_e32 v7, v5, v7
	v_subrev_nc_u32_e32 v9, s20, v7
	v_cmp_le_u32_e32 vcc_lo, s20, v7
	s_wait_alu 0xfffd
	s_delay_alu instid0(VALU_DEP_2) | instskip(NEXT) | instid1(VALU_DEP_1)
	v_dual_cndmask_b32 v7, v7, v9 :: v_dual_cndmask_b32 v4, v4, v8
	v_cmp_le_u32_e32 vcc_lo, s20, v7
	s_delay_alu instid0(VALU_DEP_2) | instskip(SKIP_1) | instid1(VALU_DEP_1)
	v_add_nc_u32_e32 v8, 1, v4
	s_wait_alu 0xfffd
	v_dual_cndmask_b32 v7, v4, v8 :: v_dual_mov_b32 v8, v3
.LBB0_6:                                ;   in Loop: Header=BB0_2 Depth=1
	s_wait_alu 0xfffe
	s_or_b32 exec_lo, exec_lo, s2
	s_load_b64 s[22:23], s[14:15], 0x0
	s_delay_alu instid0(VALU_DEP_1)
	v_mul_lo_u32 v4, v8, s20
	v_mul_lo_u32 v11, v7, s21
	v_mad_co_u64_u32 v[9:10], null, v7, s20, 0
	s_add_nc_u64 s[16:17], s[16:17], 1
	s_add_nc_u64 s[14:15], s[14:15], 8
	s_wait_alu 0xfffe
	v_cmp_ge_u64_e64 s2, s[16:17], s[6:7]
	s_add_nc_u64 s[18:19], s[18:19], 8
	s_delay_alu instid0(VALU_DEP_2) | instskip(NEXT) | instid1(VALU_DEP_3)
	v_add3_u32 v4, v10, v11, v4
	v_sub_co_u32 v5, vcc_lo, v5, v9
	s_wait_alu 0xfffd
	s_delay_alu instid0(VALU_DEP_2) | instskip(SKIP_3) | instid1(VALU_DEP_2)
	v_sub_co_ci_u32_e32 v4, vcc_lo, v6, v4, vcc_lo
	s_and_b32 vcc_lo, exec_lo, s2
	s_wait_kmcnt 0x0
	v_mul_lo_u32 v6, s23, v5
	v_mul_lo_u32 v4, s22, v4
	v_mad_co_u64_u32 v[1:2], null, s22, v5, v[1:2]
	s_delay_alu instid0(VALU_DEP_1)
	v_add3_u32 v2, v6, v2, v4
	s_wait_alu 0xfffe
	s_cbranch_vccnz .LBB0_9
; %bb.7:                                ;   in Loop: Header=BB0_2 Depth=1
	v_dual_mov_b32 v5, v7 :: v_dual_mov_b32 v6, v8
	s_branch .LBB0_2
.LBB0_8:
	v_dual_mov_b32 v8, v6 :: v_dual_mov_b32 v7, v5
.LBB0_9:
	s_lshl_b64 s[2:3], s[6:7], 3
	v_mul_hi_u32 v3, 0x4a7904b, v0
	s_wait_alu 0xfffe
	s_add_nc_u64 s[2:3], s[12:13], s[2:3]
	s_load_b64 s[0:1], s[0:1], 0x20
	s_load_b64 s[2:3], s[2:3], 0x0
                                        ; implicit-def: $vgpr248
                                        ; implicit-def: $vgpr252
                                        ; implicit-def: $vgpr255
                                        ; implicit-def: $vgpr219
	s_delay_alu instid0(VALU_DEP_1) | instskip(NEXT) | instid1(VALU_DEP_1)
	v_mul_u32_u24_e32 v3, 55, v3
	v_sub_nc_u32_e32 v246, v0, v3
	s_wait_kmcnt 0x0
	v_cmp_gt_u64_e32 vcc_lo, s[0:1], v[7:8]
	v_mul_lo_u32 v3, s2, v8
	v_mul_lo_u32 v4, s3, v7
	v_mad_co_u64_u32 v[0:1], null, s2, v7, v[1:2]
	v_cmp_le_u64_e64 s0, s[0:1], v[7:8]
	s_delay_alu instid0(VALU_DEP_2) | instskip(NEXT) | instid1(VALU_DEP_2)
	v_add3_u32 v1, v4, v1, v3
	s_and_saveexec_b32 s1, s0
	s_wait_alu 0xfffe
	s_xor_b32 s0, exec_lo, s1
; %bb.10:
	v_add_nc_u32_e32 v248, 55, v246
	v_add_nc_u32_e32 v252, 0x6e, v246
	;; [unrolled: 1-line block ×4, first 2 shown]
; %bb.11:
	s_wait_alu 0xfffe
	s_or_saveexec_b32 s1, s0
	v_lshlrev_b64_e32 v[0:1], 4, v[0:1]
                                        ; implicit-def: $vgpr104_vgpr105
                                        ; implicit-def: $vgpr120_vgpr121
                                        ; implicit-def: $vgpr112_vgpr113
                                        ; implicit-def: $vgpr108_vgpr109
                                        ; implicit-def: $vgpr116_vgpr117
                                        ; implicit-def: $vgpr100_vgpr101
                                        ; implicit-def: $vgpr2_vgpr3
                                        ; implicit-def: $vgpr128_vgpr129
                                        ; implicit-def: $vgpr144_vgpr145
                                        ; implicit-def: $vgpr136_vgpr137
                                        ; implicit-def: $vgpr132_vgpr133
                                        ; implicit-def: $vgpr140_vgpr141
                                        ; implicit-def: $vgpr124_vgpr125
                                        ; implicit-def: $vgpr84_vgpr85
                                        ; implicit-def: $vgpr152_vgpr153
                                        ; implicit-def: $vgpr168_vgpr169
                                        ; implicit-def: $vgpr160_vgpr161
                                        ; implicit-def: $vgpr156_vgpr157
                                        ; implicit-def: $vgpr164_vgpr165
                                        ; implicit-def: $vgpr148_vgpr149
                                        ; implicit-def: $vgpr88_vgpr89
                                        ; implicit-def: $vgpr176_vgpr177
                                        ; implicit-def: $vgpr192_vgpr193
                                        ; implicit-def: $vgpr184_vgpr185
                                        ; implicit-def: $vgpr180_vgpr181
                                        ; implicit-def: $vgpr188_vgpr189
                                        ; implicit-def: $vgpr172_vgpr173
                                        ; implicit-def: $vgpr92_vgpr93
                                        ; implicit-def: $vgpr200_vgpr201
                                        ; implicit-def: $vgpr216_vgpr217
                                        ; implicit-def: $vgpr208_vgpr209
                                        ; implicit-def: $vgpr204_vgpr205
                                        ; implicit-def: $vgpr212_vgpr213
                                        ; implicit-def: $vgpr196_vgpr197
                                        ; implicit-def: $vgpr96_vgpr97
	scratch_store_b64 off, v[0:1], off offset:8 ; 8-byte Folded Spill
	s_wait_alu 0xfffe
	s_xor_b32 exec_lo, exec_lo, s1
	s_cbranch_execz .LBB0_13
; %bb.12:
	v_add_nc_u32_e32 v9, 0x113, v246
	v_add_nc_u32_e32 v11, 0x226, v246
	v_mad_co_u64_u32 v[0:1], null, s8, v246, 0
	v_add_nc_u32_e32 v22, 0x14a, v246
	s_delay_alu instid0(VALU_DEP_4) | instskip(NEXT) | instid1(VALU_DEP_4)
	v_mad_co_u64_u32 v[2:3], null, s8, v9, 0
	v_mad_co_u64_u32 v[4:5], null, s8, v11, 0
	v_add_nc_u32_e32 v252, 0x6e, v246
	v_add_nc_u32_e32 v42, 0x4ba, v246
	;; [unrolled: 1-line block ×4, first 2 shown]
	v_mad_co_u64_u32 v[6:7], null, s9, v246, v[1:2]
	v_dual_mov_b32 v1, v5 :: v_dual_add_nc_u32 v12, 0x339, v246
	v_mad_co_u64_u32 v[9:10], null, s9, v9, v[3:4]
	v_mad_co_u64_u32 v[34:35], null, s8, v252, 0
	s_delay_alu instid0(VALU_DEP_3)
	v_mad_co_u64_u32 v[10:11], null, s9, v11, v[1:2]
	v_dual_mov_b32 v1, v6 :: v_dual_add_nc_u32 v16, 0x55f, v246
	scratch_load_b64 v[5:6], off, off offset:8 ; 8-byte Folded Reload
	v_mad_co_u64_u32 v[7:8], null, s8, v12, 0
	v_lshlrev_b64_e32 v[0:1], 4, v[0:1]
	v_add_nc_u32_e32 v60, 0x604, v246
	v_add_nc_u32_e32 v219, 0xdc, v246
	;; [unrolled: 1-line block ×5, first 2 shown]
	v_mad_co_u64_u32 v[56:57], null, s8, v60, 0
	v_add_nc_u32_e32 v54, 0x2cb, v246
	s_delay_alu instid0(VALU_DEP_4)
	v_mad_co_u64_u32 v[67:68], null, s8, v71, 0
	v_add_nc_u32_e32 v25, 0x25d, v246
	v_add_nc_u32_e32 v31, 0x596, v246
	;; [unrolled: 1-line block ×5, first 2 shown]
	v_mad_co_u64_u32 v[20:21], null, s8, v25, 0
	v_add_nc_u32_e32 v76, 0x74e, v246
	s_delay_alu instid0(VALU_DEP_4) | instskip(NEXT) | instid1(VALU_DEP_4)
	v_mad_co_u64_u32 v[58:59], null, s8, v61, 0
	v_mad_co_u64_u32 v[62:63], null, s8, v65, 0
	s_delay_alu instid0(VALU_DEP_3)
	v_mad_co_u64_u32 v[73:74], null, s8, v76, 0
	s_wait_loadcnt 0x0
	v_add_co_u32 v32, s0, s10, v5
	s_wait_alu 0xf1ff
	v_add_co_ci_u32_e64 v33, s0, s11, v6, s0
	v_dual_mov_b32 v6, v8 :: v_dual_mov_b32 v5, v10
	s_delay_alu instid0(VALU_DEP_3) | instskip(SKIP_1) | instid1(VALU_DEP_3)
	v_add_co_u32 v0, s0, v32, v0
	s_wait_alu 0xf1ff
	v_add_co_ci_u32_e64 v1, s0, v33, v1, s0
	s_delay_alu instid0(VALU_DEP_3) | instskip(SKIP_2) | instid1(VALU_DEP_3)
	v_mad_co_u64_u32 v[11:12], null, s9, v12, v[6:7]
	v_mov_b32_e32 v3, v9
	v_lshlrev_b64_e32 v[4:5], 4, v[4:5]
	v_mov_b32_e32 v8, v11
	v_mad_co_u64_u32 v[11:12], null, s8, v16, 0
	v_add_nc_u32_e32 v13, 0x44c, v246
	v_lshlrev_b64_e32 v[2:3], 4, v[2:3]
	s_delay_alu instid0(VALU_DEP_2) | instskip(NEXT) | instid1(VALU_DEP_2)
	v_mad_co_u64_u32 v[9:10], null, s8, v13, 0
	v_add_co_u32 v2, s0, v32, v2
	s_wait_alu 0xf1ff
	s_delay_alu instid0(VALU_DEP_3) | instskip(SKIP_1) | instid1(VALU_DEP_4)
	v_add_co_ci_u32_e64 v3, s0, v33, v3, s0
	v_add_co_u32 v4, s0, v32, v4
	v_mov_b32_e32 v6, v10
	s_wait_alu 0xf1ff
	v_add_co_ci_u32_e64 v5, s0, v33, v5, s0
	s_delay_alu instid0(VALU_DEP_2) | instskip(SKIP_3) | instid1(VALU_DEP_4)
	v_mad_co_u64_u32 v[13:14], null, s9, v13, v[6:7]
	v_mad_co_u64_u32 v[14:15], null, s8, v18, 0
	v_lshlrev_b64_e32 v[6:7], 4, v[7:8]
	v_mov_b32_e32 v8, v12
	v_mov_b32_e32 v10, v13
	s_delay_alu instid0(VALU_DEP_2) | instskip(SKIP_1) | instid1(VALU_DEP_3)
	v_mad_co_u64_u32 v[12:13], null, s9, v16, v[8:9]
	v_mov_b32_e32 v8, v15
	v_lshlrev_b64_e32 v[9:10], 4, v[9:10]
	v_add_co_u32 v6, s0, v32, v6
	s_wait_alu 0xf1ff
	v_add_co_ci_u32_e64 v7, s0, v33, v7, s0
	s_delay_alu instid0(VALU_DEP_3) | instskip(SKIP_4) | instid1(VALU_DEP_4)
	v_mad_co_u64_u32 v[18:19], null, s9, v18, v[8:9]
	v_add_co_u32 v8, s0, v32, v9
	s_wait_alu 0xf1ff
	v_add_co_ci_u32_e64 v9, s0, v33, v10, s0
	v_lshlrev_b64_e32 v[10:11], 4, v[11:12]
	v_mov_b32_e32 v15, v18
	v_mad_co_u64_u32 v[18:19], null, s8, v22, 0
	v_add_nc_u32_e32 v248, 55, v246
	s_delay_alu instid0(VALU_DEP_4) | instskip(SKIP_2) | instid1(VALU_DEP_3)
	v_add_co_u32 v10, s0, v32, v10
	s_wait_alu 0xf1ff
	v_add_co_ci_u32_e64 v11, s0, v33, v11, s0
	v_mad_co_u64_u32 v[16:17], null, s8, v248, 0
	s_delay_alu instid0(VALU_DEP_1) | instskip(NEXT) | instid1(VALU_DEP_1)
	v_mov_b32_e32 v12, v17
	v_mad_co_u64_u32 v[12:13], null, s9, v248, v[12:13]
	v_lshlrev_b64_e32 v[13:14], 4, v[14:15]
	v_mov_b32_e32 v15, v19
	s_delay_alu instid0(VALU_DEP_3) | instskip(NEXT) | instid1(VALU_DEP_3)
	v_mov_b32_e32 v17, v12
	v_add_co_u32 v12, s0, v32, v13
	s_delay_alu instid0(VALU_DEP_3) | instskip(SKIP_4) | instid1(VALU_DEP_4)
	v_mad_co_u64_u32 v[22:23], null, s9, v22, v[15:16]
	s_wait_alu 0xf1ff
	v_add_co_ci_u32_e64 v13, s0, v33, v14, s0
	v_lshlrev_b64_e32 v[14:15], 4, v[16:17]
	v_dual_mov_b32 v16, v21 :: v_dual_add_nc_u32 v21, 0x370, v246
	v_dual_mov_b32 v19, v22 :: v_dual_add_nc_u32 v22, 0x483, v246
	s_delay_alu instid0(VALU_DEP_2) | instskip(NEXT) | instid1(VALU_DEP_3)
	v_mad_co_u64_u32 v[16:17], null, s9, v25, v[16:17]
	v_mad_co_u64_u32 v[23:24], null, s8, v21, 0
	s_delay_alu instid0(VALU_DEP_3) | instskip(NEXT) | instid1(VALU_DEP_4)
	v_lshlrev_b64_e32 v[18:19], 4, v[18:19]
	v_mad_co_u64_u32 v[25:26], null, s8, v22, 0
	v_add_co_u32 v14, s0, v32, v14
	s_wait_alu 0xf1ff
	v_add_co_ci_u32_e64 v15, s0, v33, v15, s0
	v_mov_b32_e32 v17, v24
	s_delay_alu instid0(VALU_DEP_1) | instskip(SKIP_4) | instid1(VALU_DEP_3)
	v_mad_co_u64_u32 v[27:28], null, s9, v21, v[17:18]
	v_mov_b32_e32 v21, v16
	v_add_co_u32 v16, s0, v32, v18
	s_wait_alu 0xf1ff
	v_add_co_ci_u32_e64 v17, s0, v33, v19, s0
	v_lshlrev_b64_e32 v[18:19], 4, v[20:21]
	v_mov_b32_e32 v20, v26
	v_mov_b32_e32 v24, v27
	v_mad_co_u64_u32 v[27:28], null, s8, v31, 0
	s_delay_alu instid0(VALU_DEP_3) | instskip(NEXT) | instid1(VALU_DEP_3)
	v_mad_co_u64_u32 v[20:21], null, s9, v22, v[20:21]
	v_lshlrev_b64_e32 v[21:22], 4, v[23:24]
	v_add_co_u32 v18, s0, v32, v18
	s_delay_alu instid0(VALU_DEP_4) | instskip(SKIP_3) | instid1(VALU_DEP_3)
	v_dual_mov_b32 v23, v28 :: v_dual_add_nc_u32 v28, 0x6a9, v246
	s_wait_alu 0xf1ff
	v_add_co_ci_u32_e64 v19, s0, v33, v19, s0
	v_mov_b32_e32 v26, v20
	v_mad_co_u64_u32 v[23:24], null, s9, v31, v[23:24]
	v_mad_co_u64_u32 v[29:30], null, s8, v28, 0
	v_add_co_u32 v20, s0, v32, v21
	s_wait_alu 0xf1ff
	v_add_co_ci_u32_e64 v21, s0, v33, v22, s0
	s_delay_alu instid0(VALU_DEP_3) | instskip(NEXT) | instid1(VALU_DEP_1)
	v_mov_b32_e32 v22, v30
	v_mad_co_u64_u32 v[30:31], null, s9, v28, v[22:23]
	v_add_nc_u32_e32 v31, 0x181, v246
	v_lshlrev_b64_e32 v[24:25], 4, v[25:26]
	v_mov_b32_e32 v28, v23
	v_mov_b32_e32 v26, v35
	s_delay_alu instid0(VALU_DEP_4) | instskip(NEXT) | instid1(VALU_DEP_4)
	v_mad_co_u64_u32 v[36:37], null, s8, v31, 0
	v_add_co_u32 v22, s0, v32, v24
	s_wait_alu 0xf1ff
	v_add_co_ci_u32_e64 v23, s0, v33, v25, s0
	v_lshlrev_b64_e32 v[24:25], 4, v[27:28]
	v_mad_co_u64_u32 v[26:27], null, s9, v252, v[26:27]
	v_lshlrev_b64_e32 v[27:28], 4, v[29:30]
	v_mov_b32_e32 v29, v37
	v_add_nc_u32_e32 v37, 0x294, v246
	v_add_co_u32 v24, s0, v32, v24
	s_wait_alu 0xf1ff
	v_add_co_ci_u32_e64 v25, s0, v33, v25, s0
	s_delay_alu instid0(VALU_DEP_3)
	v_mad_co_u64_u32 v[38:39], null, s8, v37, 0
	v_mov_b32_e32 v35, v26
	v_mad_co_u64_u32 v[29:30], null, s9, v31, v[29:30]
	v_add_co_u32 v26, s0, v32, v27
	s_wait_alu 0xf1ff
	v_add_co_ci_u32_e64 v27, s0, v33, v28, s0
	v_mov_b32_e32 v28, v39
	v_lshlrev_b64_e32 v[30:31], 4, v[34:35]
	v_mad_co_u64_u32 v[34:35], null, s8, v41, 0
	s_delay_alu instid0(VALU_DEP_3) | instskip(SKIP_1) | instid1(VALU_DEP_4)
	v_mad_co_u64_u32 v[39:40], null, s9, v37, v[28:29]
	v_mov_b32_e32 v37, v29
	v_add_co_u32 v28, s0, v32, v30
	s_wait_alu 0xf1ff
	v_add_co_ci_u32_e64 v29, s0, v33, v31, s0
	s_delay_alu instid0(VALU_DEP_3) | instskip(SKIP_2) | instid1(VALU_DEP_3)
	v_lshlrev_b64_e32 v[30:31], 4, v[36:37]
	v_mad_co_u64_u32 v[36:37], null, s8, v42, 0
	v_lshlrev_b64_e32 v[38:39], 4, v[38:39]
	v_add_co_u32 v30, s0, v32, v30
	s_wait_alu 0xf1ff
	s_delay_alu instid0(VALU_DEP_4) | instskip(NEXT) | instid1(VALU_DEP_4)
	v_add_co_ci_u32_e64 v31, s0, v33, v31, s0
	v_mad_co_u64_u32 v[40:41], null, s9, v41, v[35:36]
	s_delay_alu instid0(VALU_DEP_1) | instskip(SKIP_3) | instid1(VALU_DEP_4)
	v_mov_b32_e32 v35, v40
	v_mad_co_u64_u32 v[42:43], null, s9, v42, v[37:38]
	v_mad_co_u64_u32 v[43:44], null, s8, v47, 0
	v_add_nc_u32_e32 v45, 0x5cd, v246
	v_lshlrev_b64_e32 v[34:35], 4, v[34:35]
	v_add_co_u32 v38, s0, v32, v38
	v_mov_b32_e32 v37, v42
	s_delay_alu instid0(VALU_DEP_4)
	v_mad_co_u64_u32 v[40:41], null, s8, v45, 0
	s_wait_alu 0xf1ff
	v_add_co_ci_u32_e64 v39, s0, v33, v39, s0
	v_add_co_u32 v34, s0, v32, v34
	s_wait_alu 0xf1ff
	v_add_co_ci_u32_e64 v35, s0, v33, v35, s0
	s_delay_alu instid0(VALU_DEP_4) | instskip(SKIP_1) | instid1(VALU_DEP_1)
	v_mad_co_u64_u32 v[41:42], null, s9, v45, v[41:42]
	v_mov_b32_e32 v42, v44
	v_mad_co_u64_u32 v[47:48], null, s9, v47, v[42:43]
	s_delay_alu instid0(VALU_DEP_3) | instskip(NEXT) | instid1(VALU_DEP_2)
	v_lshlrev_b64_e32 v[40:41], 4, v[40:41]
	v_mov_b32_e32 v44, v47
	v_mad_co_u64_u32 v[47:48], null, s8, v51, 0
	v_add_nc_u32_e32 v255, 0xa5, v246
	v_lshlrev_b64_e32 v[36:37], 4, v[36:37]
	s_delay_alu instid0(VALU_DEP_2) | instskip(NEXT) | instid1(VALU_DEP_2)
	v_mad_co_u64_u32 v[45:46], null, s8, v255, 0
	v_add_co_u32 v36, s0, v32, v36
	s_wait_alu 0xf1ff
	s_delay_alu instid0(VALU_DEP_3) | instskip(SKIP_1) | instid1(VALU_DEP_4)
	v_add_co_ci_u32_e64 v37, s0, v33, v37, s0
	v_add_co_u32 v40, s0, v32, v40
	v_mov_b32_e32 v42, v46
	s_wait_alu 0xf1ff
	v_add_co_ci_u32_e64 v41, s0, v33, v41, s0
	s_delay_alu instid0(VALU_DEP_2) | instskip(SKIP_2) | instid1(VALU_DEP_3)
	v_mad_co_u64_u32 v[49:50], null, s9, v255, v[42:43]
	v_lshlrev_b64_e32 v[42:43], 4, v[43:44]
	v_mov_b32_e32 v44, v48
	v_mov_b32_e32 v46, v49
	v_mad_co_u64_u32 v[49:50], null, s8, v54, 0
	s_delay_alu instid0(VALU_DEP_3) | instskip(SKIP_1) | instid1(VALU_DEP_4)
	v_mad_co_u64_u32 v[51:52], null, s9, v51, v[44:45]
	v_add_nc_u32_e32 v55, 0x3de, v246
	v_lshlrev_b64_e32 v[44:45], 4, v[45:46]
	v_add_co_u32 v42, s0, v32, v42
	v_mov_b32_e32 v46, v50
	s_delay_alu instid0(VALU_DEP_4)
	v_mad_co_u64_u32 v[52:53], null, s8, v55, 0
	v_mov_b32_e32 v48, v51
	s_wait_alu 0xf1ff
	v_add_co_ci_u32_e64 v43, s0, v33, v43, s0
	v_mad_co_u64_u32 v[50:51], null, s9, v54, v[46:47]
	v_add_nc_u32_e32 v51, 0x4f1, v246
	v_lshlrev_b64_e32 v[47:48], 4, v[47:48]
	v_mov_b32_e32 v46, v53
	v_add_co_u32 v44, s0, v32, v44
	s_wait_alu 0xf1ff
	v_add_co_ci_u32_e64 v45, s0, v33, v45, s0
	s_delay_alu instid0(VALU_DEP_3)
	v_mad_co_u64_u32 v[53:54], null, s9, v55, v[46:47]
	v_mad_co_u64_u32 v[54:55], null, s8, v51, 0
	v_add_co_u32 v46, s0, v32, v47
	s_wait_alu 0xf1ff
	v_add_co_ci_u32_e64 v47, s0, v33, v48, s0
	v_lshlrev_b64_e32 v[48:49], 4, v[49:50]
	v_lshlrev_b64_e32 v[52:53], 4, v[52:53]
	v_mov_b32_e32 v50, v55
	s_delay_alu instid0(VALU_DEP_3) | instskip(NEXT) | instid1(VALU_DEP_2)
	v_add_co_u32 v48, s0, v32, v48
	v_mad_co_u64_u32 v[50:51], null, s9, v51, v[50:51]
	v_mov_b32_e32 v51, v57
	v_mov_b32_e32 v57, v59
	s_wait_alu 0xf1ff
	v_add_co_ci_u32_e64 v49, s0, v33, v49, s0
	s_delay_alu instid0(VALU_DEP_4) | instskip(SKIP_4) | instid1(VALU_DEP_4)
	v_mov_b32_e32 v55, v50
	v_mad_co_u64_u32 v[50:51], null, s9, v60, v[51:52]
	v_mad_co_u64_u32 v[59:60], null, s9, v61, v[57:58]
	;; [unrolled: 1-line block ×3, first 2 shown]
	v_add_co_u32 v51, s0, v32, v52
	v_mov_b32_e32 v57, v50
	s_wait_alu 0xf1ff
	v_add_co_ci_u32_e64 v52, s0, v33, v53, s0
	s_delay_alu instid0(VALU_DEP_4)
	v_mov_b32_e32 v50, v61
	v_lshlrev_b64_e32 v[53:54], 4, v[54:55]
	v_lshlrev_b64_e32 v[55:56], 4, v[56:57]
	;; [unrolled: 1-line block ×3, first 2 shown]
	v_mov_b32_e32 v59, v63
	v_mad_co_u64_u32 v[63:64], null, s9, v219, v[50:51]
	v_add_co_u32 v53, s0, v32, v53
	s_delay_alu instid0(VALU_DEP_3) | instskip(SKIP_1) | instid1(VALU_DEP_4)
	v_mad_co_u64_u32 v[64:65], null, s9, v65, v[59:60]
	v_mad_co_u64_u32 v[65:66], null, s8, v69, 0
	v_mov_b32_e32 v61, v63
	s_wait_alu 0xf1ff
	v_add_co_ci_u32_e64 v54, s0, v33, v54, s0
	v_add_co_u32 v55, s0, v32, v55
	s_delay_alu instid0(VALU_DEP_4)
	v_dual_mov_b32 v63, v64 :: v_dual_mov_b32 v50, v66
	v_add_nc_u32_e32 v64, 0x528, v246
	v_lshlrev_b64_e32 v[59:60], 4, v[60:61]
	v_mov_b32_e32 v61, v68
	s_wait_alu 0xf1ff
	v_add_co_ci_u32_e64 v56, s0, v33, v56, s0
	v_mad_co_u64_u32 v[68:69], null, s9, v69, v[50:51]
	v_mad_co_u64_u32 v[69:70], null, s8, v64, 0
	;; [unrolled: 1-line block ×3, first 2 shown]
	v_lshlrev_b64_e32 v[61:62], 4, v[62:63]
	v_add_co_u32 v57, s0, v32, v57
	v_mov_b32_e32 v66, v68
	v_mov_b32_e32 v50, v70
	s_wait_alu 0xf1ff
	v_add_co_ci_u32_e64 v58, s0, v33, v58, s0
	v_mov_b32_e32 v68, v71
	v_add_co_u32 v59, s0, v32, v59
	v_mad_co_u64_u32 v[63:64], null, s9, v64, v[50:51]
	v_add_nc_u32_e32 v75, 0x63b, v246
	v_lshlrev_b64_e32 v[64:65], 4, v[65:66]
	v_lshlrev_b64_e32 v[66:67], 4, v[67:68]
	v_mov_b32_e32 v68, v74
	s_wait_alu 0xf1ff
	v_add_co_ci_u32_e64 v60, s0, v33, v60, s0
	v_mov_b32_e32 v70, v63
	v_mad_co_u64_u32 v[71:72], null, s8, v75, 0
	v_add_co_u32 v61, s0, v32, v61
	s_wait_alu 0xf1ff
	v_add_co_ci_u32_e64 v62, s0, v33, v62, s0
	v_add_co_u32 v63, s0, v32, v64
	s_delay_alu instid0(VALU_DEP_4) | instskip(SKIP_3) | instid1(VALU_DEP_3)
	v_mov_b32_e32 v50, v72
	s_wait_alu 0xf1ff
	v_add_co_ci_u32_e64 v64, s0, v33, v65, s0
	v_add_co_u32 v65, s0, v32, v66
	v_mad_co_u64_u32 v[74:75], null, s9, v75, v[50:51]
	v_mad_co_u64_u32 v[75:76], null, s9, v76, v[68:69]
	v_lshlrev_b64_e32 v[68:69], 4, v[69:70]
	s_wait_alu 0xf1ff
	v_add_co_ci_u32_e64 v66, s0, v33, v67, s0
	s_delay_alu instid0(VALU_DEP_4) | instskip(NEXT) | instid1(VALU_DEP_4)
	v_mov_b32_e32 v72, v74
	v_mov_b32_e32 v74, v75
	s_delay_alu instid0(VALU_DEP_4) | instskip(NEXT) | instid1(VALU_DEP_3)
	v_add_co_u32 v67, s0, v32, v68
	v_lshlrev_b64_e32 v[70:71], 4, v[71:72]
	s_wait_alu 0xf1ff
	v_add_co_ci_u32_e64 v68, s0, v33, v69, s0
	v_lshlrev_b64_e32 v[72:73], 4, v[73:74]
	s_delay_alu instid0(VALU_DEP_3) | instskip(SKIP_2) | instid1(VALU_DEP_3)
	v_add_co_u32 v69, s0, v32, v70
	s_wait_alu 0xf1ff
	v_add_co_ci_u32_e64 v70, s0, v33, v71, s0
	v_add_co_u32 v32, s0, v32, v72
	s_wait_alu 0xf1ff
	v_add_co_ci_u32_e64 v33, s0, v33, v73, s0
	s_clause 0x1f
	global_load_b128 v[94:97], v[0:1], off
	global_load_b128 v[194:197], v[2:3], off
	;; [unrolled: 1-line block ×32, first 2 shown]
	s_clause 0x2
	global_load_b128 v[110:113], v[67:68], off
	global_load_b128 v[118:121], v[69:70], off
	;; [unrolled: 1-line block ×3, first 2 shown]
.LBB0_13:
	s_or_b32 exec_lo, exec_lo, s1
	s_wait_loadcnt 0x1c
	v_add_f64_e32 v[4:5], v[198:199], v[194:195]
	v_add_f64_e32 v[6:7], v[214:215], v[210:211]
	s_wait_loadcnt 0x15
	v_add_f64_e32 v[8:9], v[174:175], v[170:171]
	v_add_f64_e32 v[10:11], v[190:191], v[186:187]
	s_wait_loadcnt 0xe
	v_add_f64_e32 v[12:13], v[150:151], v[146:147]
	v_add_f64_e32 v[14:15], v[166:167], v[162:163]
	s_wait_loadcnt 0x7
	v_add_f64_e32 v[18:19], v[126:127], v[122:123]
	v_add_f64_e32 v[20:21], v[142:143], v[138:139]
	v_add_f64_e64 v[22:23], v[212:213], -v[216:217]
	v_add_f64_e64 v[24:25], v[208:209], -v[204:205]
	s_wait_loadcnt 0x0
	v_add_f64_e32 v[26:27], v[102:103], v[98:99]
	v_add_f64_e32 v[28:29], v[118:119], v[114:115]
	;; [unrolled: 1-line block ×3, first 2 shown]
	v_add_f64_e64 v[30:31], v[196:197], -v[200:201]
	v_add_f64_e64 v[32:33], v[188:189], -v[192:193]
	;; [unrolled: 1-line block ×4, first 2 shown]
	v_add_f64_e32 v[38:39], v[182:183], v[178:179]
	v_add_f64_e64 v[42:43], v[164:165], -v[168:169]
	v_add_f64_e64 v[44:45], v[160:161], -v[156:157]
	v_add_f64_e32 v[46:47], v[158:159], v[154:155]
	v_add_f64_e64 v[48:49], v[148:149], -v[152:153]
	v_add_f64_e64 v[50:51], v[140:141], -v[144:145]
	v_add_f64_e64 v[54:55], v[136:137], -v[132:133]
	v_add_f64_e32 v[58:59], v[134:135], v[130:131]
	v_add_f64_e64 v[56:57], v[124:125], -v[128:129]
	;; [unrolled: 4-line block ×3, first 2 shown]
	s_mov_b32 s12, 0xe976ee23
	s_mov_b32 s6, 0x37e14327
	;; [unrolled: 1-line block ×9, first 2 shown]
	v_add_f64_e32 v[40:41], v[6:7], v[4:5]
	s_mov_b32 s20, 0xb247c609
	v_add_f64_e32 v[52:53], v[10:11], v[8:9]
	s_mov_b32 s17, 0x3fe77f67
	;; [unrolled: 2-line block ×4, first 2 shown]
	v_add_f64_e64 v[76:77], v[24:25], -v[22:23]
	s_mov_b32 s23, 0xbfd5d0dc
	v_add_f64_e32 v[78:79], v[28:29], v[26:27]
	v_add_f64_e64 v[70:71], v[4:5], -v[16:17]
	v_add_f64_e64 v[74:75], v[16:17], -v[6:7]
	;; [unrolled: 1-line block ×4, first 2 shown]
	v_add_f64_e32 v[6:7], v[24:25], v[22:23]
	v_add_f64_e64 v[22:23], v[30:31], -v[24:25]
	v_add_f64_e32 v[24:25], v[34:35], v[32:33]
	v_add_f64_e64 v[220:221], v[34:35], -v[32:33]
	v_add_f64_e64 v[32:33], v[32:33], -v[36:37]
	;; [unrolled: 1-line block ×5, first 2 shown]
	v_add_f64_e32 v[224:225], v[44:45], v[42:43]
	v_add_f64_e64 v[42:43], v[42:43], -v[48:49]
	v_add_f64_e32 v[230:231], v[54:55], v[50:51]
	v_add_f64_e64 v[232:233], v[54:55], -v[50:51]
	v_add_f64_e64 v[234:235], v[18:19], -v[58:59]
	;; [unrolled: 1-line block ×6, first 2 shown]
	v_add_f64_e32 v[236:237], v[64:65], v[62:63]
	v_add_f64_e64 v[62:63], v[62:63], -v[68:69]
	v_add_f64_e64 v[18:19], v[20:21], -v[18:19]
	;; [unrolled: 1-line block ×5, first 2 shown]
	v_add_f64_e32 v[16:17], v[16:17], v[40:41]
	v_add_f64_e64 v[40:41], v[38:39], -v[10:11]
	v_add_f64_e32 v[38:39], v[38:39], v[52:53]
	v_add_f64_e64 v[52:53], v[46:47], -v[14:15]
	;; [unrolled: 2-line block ×4, first 2 shown]
	v_mul_f64_e32 v[10:11], s[12:13], v[76:77]
	v_add_f64_e64 v[14:15], v[48:49], -v[44:45]
	v_add_f64_e32 v[76:77], v[66:67], v[78:79]
	s_wait_alu 0xfffe
	v_mul_f64_e32 v[70:71], s[6:7], v[70:71]
	v_mul_f64_e32 v[72:73], s[2:3], v[74:75]
	;; [unrolled: 1-line block ×3, first 2 shown]
	v_add_f64_e64 v[66:67], v[66:67], -v[28:29]
	v_add_f64_e32 v[6:7], v[6:7], v[30:31]
	v_add_f64_e64 v[28:29], v[68:69], -v[64:65]
	v_add_f64_e32 v[24:25], v[24:25], v[36:37]
	v_mul_f64_e32 v[30:31], s[12:13], v[220:221]
	v_mul_f64_e32 v[36:37], s[14:15], v[32:33]
	;; [unrolled: 1-line block ×3, first 2 shown]
	s_mov_b32 s18, s16
	v_mul_f64_e32 v[222:223], s[6:7], v[228:229]
	v_add_f64_e32 v[48:49], v[224:225], v[48:49]
	v_mul_f64_e32 v[220:221], s[14:15], v[42:43]
	v_add_f64_e32 v[56:57], v[230:231], v[56:57]
	s_mov_b32 s22, s20
	v_mul_f64_e32 v[230:231], s[6:7], v[234:235]
	v_mul_f64_e32 v[228:229], s[14:15], v[50:51]
	;; [unrolled: 1-line block ×4, first 2 shown]
	s_mov_b32 s24, 0xaaaaaaaa
	v_add_f64_e32 v[68:69], v[236:237], v[68:69]
	v_mul_f64_e32 v[236:237], s[14:15], v[62:63]
	s_mov_b32 s25, 0xbff2aaaa
	s_mov_b32 s26, 0x37c3f68c
	;; [unrolled: 1-line block ×3, first 2 shown]
	v_mad_u32_u24 v243, v246, 56, 0
	v_add_f64_e32 v[54:55], v[94:95], v[16:17]
	v_mul_f64_e32 v[64:65], s[2:3], v[40:41]
	v_add_f64_e32 v[90:91], v[90:91], v[38:39]
	v_mul_f64_e32 v[94:95], s[12:13], v[226:227]
	;; [unrolled: 2-line block ×3, first 2 shown]
	v_mul_f64_e32 v[226:227], s[12:13], v[232:233]
	v_add_f64_e32 v[82:83], v[82:83], v[58:59]
	v_mul_f64_e32 v[232:233], s[2:3], v[60:61]
	v_mad_i32_i24 v218, v248, 56, 0
	v_add_f64_e32 v[0:1], v[0:1], v[76:77]
	v_fma_f64 v[74:75], v[74:75], s[2:3], v[70:71]
	v_fma_f64 v[72:73], v[4:5], s[16:17], -v[72:73]
	v_fma_f64 v[4:5], v[4:5], s[18:19], -v[70:71]
	;; [unrolled: 1-line block ×3, first 2 shown]
	v_fma_f64 v[10:11], v[22:23], s[20:21], v[10:11]
	s_wait_alu 0xfffe
	v_fma_f64 v[22:23], v[22:23], s[22:23], -v[78:79]
	v_mul_f64_e32 v[78:79], s[2:3], v[66:67]
	v_fma_f64 v[32:33], v[32:33], s[14:15], -v[30:31]
	v_fma_f64 v[30:31], v[34:35], s[20:21], v[30:31]
	v_fma_f64 v[34:35], v[34:35], s[22:23], -v[36:37]
	v_fma_f64 v[36:37], v[40:41], s[2:3], v[44:45]
	v_fma_f64 v[52:53], v[52:53], s[2:3], v[222:223]
	v_mad_i32_i24 v254, 0xffffffd0, v246, v243
	v_mul_i32_i24_e32 v240, 56, v219
	v_mul_i32_i24_e32 v241, 0xffffffd0, v248
	;; [unrolled: 1-line block ×3, first 2 shown]
	v_fma_f64 v[60:61], v[60:61], s[2:3], v[230:231]
	v_cmp_gt_u32_e64 s0, 10, v246
	v_fma_f64 v[62:63], v[62:63], s[14:15], -v[234:235]
	v_fma_f64 v[66:67], v[66:67], s[2:3], v[238:239]
	v_fma_f64 v[16:17], v[16:17], s[24:25], v[54:55]
	v_fma_f64 v[40:41], v[8:9], s[16:17], -v[64:65]
	v_fma_f64 v[38:39], v[38:39], s[24:25], v[90:91]
	v_fma_f64 v[8:9], v[8:9], s[18:19], -v[44:45]
	v_fma_f64 v[42:43], v[42:43], s[14:15], -v[94:95]
	v_fma_f64 v[44:45], v[14:15], s[20:21], v[94:95]
	v_fma_f64 v[46:47], v[46:47], s[24:25], v[86:87]
	v_fma_f64 v[14:15], v[14:15], s[22:23], -v[220:221]
	v_fma_f64 v[64:65], v[12:13], s[16:17], -v[224:225]
	;; [unrolled: 1-line block ×4, first 2 shown]
	v_fma_f64 v[80:81], v[20:21], s[20:21], v[226:227]
	v_fma_f64 v[58:59], v[58:59], s[24:25], v[82:83]
	v_fma_f64 v[20:21], v[20:21], s[22:23], -v[228:229]
	v_fma_f64 v[94:95], v[18:19], s[16:17], -v[232:233]
	;; [unrolled: 1-line block ×3, first 2 shown]
	v_fma_f64 v[220:221], v[28:29], s[20:21], v[234:235]
	v_fma_f64 v[76:77], v[76:77], s[24:25], v[0:1]
	v_fma_f64 v[28:29], v[28:29], s[22:23], -v[236:237]
	v_fma_f64 v[222:223], v[26:27], s[18:19], -v[238:239]
	;; [unrolled: 1-line block ×3, first 2 shown]
	v_fma_f64 v[10:11], v[6:7], s[26:27], v[10:11]
	v_fma_f64 v[70:71], v[6:7], s[26:27], v[70:71]
	;; [unrolled: 1-line block ×6, first 2 shown]
	v_mad_i32_i24 v226, v252, 56, 0
	v_add_nc_u32_e32 v233, 0x800, v254
	v_mad_i32_i24 v232, v255, 56, 0
	v_add_nc_u32_e32 v235, 0xc00, v254
	v_add_nc_u32_e32 v227, 0x1000, v254
	v_add_nc_u32_e32 v228, 0x1800, v254
	v_add_nc_u32_e32 v236, 0x2000, v254
	v_add_nc_u32_e32 v229, 0x2800, v254
	v_add_nc_u32_e32 v238, 0x2c00, v254
	v_add_nc_u32_e32 v239, 0x3400, v254
	v_add_nc_u32_e32 v237, 0x400, v254
	v_add_f64_e32 v[22:23], v[74:75], v[16:17]
	v_add_f64_e32 v[4:5], v[4:5], v[16:17]
	;; [unrolled: 1-line block ×6, first 2 shown]
	v_fma_f64 v[38:39], v[48:49], s[26:27], v[44:45]
	v_fma_f64 v[40:41], v[48:49], s[26:27], v[42:43]
	v_add_f64_e32 v[42:43], v[52:53], v[46:47]
	v_fma_f64 v[14:15], v[48:49], s[26:27], v[14:15]
	v_add_f64_e32 v[12:13], v[12:13], v[46:47]
	v_add_f64_e32 v[44:45], v[64:65], v[46:47]
	v_fma_f64 v[46:47], v[56:57], s[26:27], v[80:81]
	v_fma_f64 v[48:49], v[56:57], s[26:27], v[50:51]
	v_add_f64_e32 v[50:51], v[60:61], v[58:59]
	v_fma_f64 v[20:21], v[56:57], s[26:27], v[20:21]
	v_add_f64_e32 v[18:19], v[18:19], v[58:59]
	v_add_f64_e32 v[52:53], v[94:95], v[58:59]
	v_fma_f64 v[56:57], v[68:69], s[26:27], v[220:221]
	v_add_f64_e32 v[60:61], v[66:67], v[76:77]
	v_fma_f64 v[58:59], v[68:69], s[26:27], v[62:63]
	v_fma_f64 v[28:29], v[68:69], s[26:27], v[28:29]
	v_add_f64_e32 v[62:63], v[222:223], v[76:77]
	v_add_f64_e32 v[26:27], v[26:27], v[76:77]
	v_add_nc_u32_e32 v234, 0x3000, v254
	v_add_f64_e32 v[64:65], v[10:11], v[22:23]
	v_add_f64_e32 v[66:67], v[6:7], v[4:5]
	v_add_f64_e64 v[68:69], v[16:17], -v[70:71]
	v_add_f64_e32 v[16:17], v[70:71], v[16:17]
	v_add_f64_e64 v[4:5], v[4:5], -v[6:7]
	v_add_f64_e64 v[6:7], v[22:23], -v[10:11]
	v_add_f64_e32 v[10:11], v[30:31], v[34:35]
	v_add_f64_e32 v[22:23], v[24:25], v[8:9]
	v_add_f64_e64 v[70:71], v[36:37], -v[32:33]
	v_add_f64_e32 v[32:33], v[32:33], v[36:37]
	v_add_f64_e64 v[24:25], v[8:9], -v[24:25]
	v_add_f64_e64 v[30:31], v[34:35], -v[30:31]
	;; [unrolled: 6-line block ×5, first 2 shown]
	v_mad_i32_i24 v56, 0xffffffd0, v252, v226
	v_mad_i32_i24 v29, 0xffffffd0, v248, v218
	;; [unrolled: 1-line block ×3, first 2 shown]
	ds_store_2addr_b64 v243, v[54:55], v[64:65] offset1:1
	ds_store_2addr_b64 v243, v[66:67], v[68:69] offset0:2 offset1:3
	ds_store_2addr_b64 v243, v[16:17], v[4:5] offset0:4 offset1:5
	ds_store_b64 v243, v[6:7] offset:48
	ds_store_2addr_b64 v218, v[90:91], v[10:11] offset1:1
	ds_store_2addr_b64 v218, v[22:23], v[70:71] offset0:2 offset1:3
	ds_store_2addr_b64 v218, v[32:33], v[24:25] offset0:4 offset1:5
	ds_store_b64 v218, v[30:31] offset:48
	;; [unrolled: 4-line block ×5, first 2 shown]
	global_wb scope:SCOPE_SE
	s_wait_storecnt_dscnt 0x0
	s_barrier_signal -1
	s_barrier_wait -1
	global_inv scope:SCOPE_SE
	ds_load_b64 v[222:223], v56
	ds_load_b64 v[224:225], v29
	ds_load_b64 v[230:231], v254 offset:14880
	ds_load_2addr_b64 v[4:7], v254 offset1:175
	ds_load_2addr_b64 v[80:83], v233 offset0:94 offset1:149
	ds_load_2addr_b64 v[56:59], v235 offset0:76 offset1:141
	;; [unrolled: 1-line block ×12, first 2 shown]
	ds_load_2addr_b64 v[36:39], v229 offset1:55
	ds_load_2addr_b64 v[28:31], v234 offset0:94 offset1:149
                                        ; implicit-def: $vgpr14_vgpr15
                                        ; implicit-def: $vgpr18_vgpr19
                                        ; implicit-def: $vgpr22_vgpr23
                                        ; implicit-def: $vgpr26_vgpr27
	s_and_saveexec_b32 s1, s0
	s_cbranch_execz .LBB0_15
; %bb.14:
	v_mad_i32_i24 v0, 0xffffffd0, v255, v232
	v_add_nc_u32_e32 v1, 0xa00, v254
	v_add_nc_u32_e32 v12, 0x1400, v254
	;; [unrolled: 1-line block ×3, first 2 shown]
	ds_load_b64 v[220:221], v0
	ds_load_2addr_b64 v[8:11], v1 offset0:20 offset1:195
	ds_load_2addr_b64 v[24:27], v12 offset0:50 offset1:225
	;; [unrolled: 1-line block ×5, first 2 shown]
.LBB0_15:
	s_wait_alu 0xfffe
	s_or_b32 exec_lo, exec_lo, s1
	v_add_f64_e32 v[0:1], v[216:217], v[212:213]
	v_add_f64_e32 v[196:197], v[200:201], v[196:197]
	v_add_f64_e64 v[210:211], v[210:211], -v[214:215]
	v_add_f64_e64 v[202:203], v[206:207], -v[202:203]
	v_add_f64_e64 v[194:195], v[194:195], -v[198:199]
	v_add_f64_e32 v[204:205], v[208:209], v[204:205]
	v_add_f64_e64 v[94:95], v[98:99], -v[102:103]
	v_add_f64_e32 v[108:109], v[112:113], v[108:109]
	v_add_f64_e64 v[90:91], v[110:111], -v[106:107]
	v_add_f64_e64 v[86:87], v[114:115], -v[118:119]
	v_add_f64_e32 v[100:101], v[104:105], v[100:101]
	v_add_f64_e32 v[188:189], v[192:193], v[188:189]
	;; [unrolled: 1-line block ×3, first 2 shown]
	global_wb scope:SCOPE_SE
	s_wait_dscnt 0x0
	s_barrier_signal -1
	s_barrier_wait -1
	global_inv scope:SCOPE_SE
	v_add_f64_e64 v[186:187], v[186:187], -v[190:191]
	v_add_f64_e64 v[178:179], v[182:183], -v[178:179]
	v_add_f64_e64 v[170:171], v[170:171], -v[174:175]
	v_add_f64_e32 v[180:181], v[184:185], v[180:181]
	v_add_f64_e32 v[164:165], v[168:169], v[164:165]
	;; [unrolled: 1-line block ×3, first 2 shown]
	v_add_f64_e64 v[162:163], v[162:163], -v[166:167]
	v_add_f64_e64 v[154:155], v[158:159], -v[154:155]
	;; [unrolled: 1-line block ×3, first 2 shown]
	v_add_f64_e32 v[156:157], v[160:161], v[156:157]
	v_add_f64_e32 v[140:141], v[144:145], v[140:141]
	;; [unrolled: 1-line block ×3, first 2 shown]
	v_add_f64_e64 v[138:139], v[138:139], -v[142:143]
	v_add_f64_e32 v[132:133], v[136:137], v[132:133]
	v_add_f64_e64 v[130:131], v[134:135], -v[130:131]
	v_add_f64_e64 v[122:123], v[122:123], -v[126:127]
	v_add_f64_e32 v[116:117], v[120:121], v[116:117]
	v_add_f64_e32 v[98:99], v[0:1], v[196:197]
	v_add_f64_e64 v[104:105], v[0:1], -v[196:197]
	v_add_f64_e64 v[110:111], v[202:203], -v[210:211]
	;; [unrolled: 1-line block ×6, first 2 shown]
	v_add_f64_e32 v[106:107], v[202:203], v[210:211]
	v_add_f64_e32 v[98:99], v[204:205], v[98:99]
	v_mul_f64_e32 v[110:111], s[12:13], v[110:111]
	v_mul_f64_e32 v[118:119], s[14:15], v[112:113]
	;; [unrolled: 1-line block ×3, first 2 shown]
	v_add_f64_e32 v[106:107], v[106:107], v[194:195]
	v_add_f64_e32 v[96:97], v[96:97], v[98:99]
	v_fma_f64 v[112:113], v[112:113], s[14:15], -v[110:111]
	v_fma_f64 v[110:111], v[114:115], s[20:21], v[110:111]
	v_fma_f64 v[114:115], v[114:115], s[22:23], -v[118:119]
	v_mul_f64_e32 v[118:119], s[2:3], v[0:1]
	v_fma_f64 v[0:1], v[0:1], s[2:3], v[102:103]
	v_fma_f64 v[102:103], v[104:105], s[18:19], -v[102:103]
	v_fma_f64 v[98:99], v[98:99], s[24:25], v[96:97]
	v_fma_f64 v[112:113], v[106:107], s[26:27], v[112:113]
	;; [unrolled: 1-line block ×4, first 2 shown]
	v_fma_f64 v[104:105], v[104:105], s[16:17], -v[118:119]
	v_add_f64_e32 v[0:1], v[0:1], v[98:99]
	v_add_f64_e32 v[102:103], v[102:103], v[98:99]
	s_delay_alu instid0(VALU_DEP_3) | instskip(NEXT) | instid1(VALU_DEP_3)
	v_add_f64_e32 v[98:99], v[104:105], v[98:99]
	v_add_f64_e64 v[104:105], v[0:1], -v[110:111]
	s_delay_alu instid0(VALU_DEP_3)
	v_add_f64_e64 v[114:115], v[102:103], -v[106:107]
	v_add_f64_e32 v[0:1], v[110:111], v[0:1]
	v_add_f64_e64 v[110:111], v[186:187], -v[170:171]
	v_add_f64_e32 v[118:119], v[112:113], v[98:99]
	ds_store_2addr_b64 v243, v[96:97], v[104:105] offset1:1
	ds_store_2addr_b64 v243, v[114:115], v[118:119] offset0:2 offset1:3
	v_add_f64_e64 v[96:97], v[98:99], -v[112:113]
	v_add_f64_e32 v[98:99], v[106:107], v[102:103]
	v_add_f64_e64 v[106:107], v[178:179], -v[186:187]
	v_add_f64_e64 v[102:103], v[180:181], -v[188:189]
	;; [unrolled: 1-line block ×3, first 2 shown]
	v_mul_f64_e32 v[114:115], s[14:15], v[110:111]
	v_add_f64_e32 v[104:105], v[178:179], v[186:187]
	ds_store_2addr_b64 v243, v[96:97], v[98:99] offset0:4 offset1:5
	ds_store_b64 v243, v[0:1] offset:48
	v_add_f64_e32 v[0:1], v[188:189], v[172:173]
	v_add_f64_e64 v[96:97], v[172:173], -v[180:181]
	v_mul_f64_e32 v[106:107], s[12:13], v[106:107]
	v_add_f64_e64 v[98:99], v[188:189], -v[172:173]
	v_add_f64_e32 v[104:105], v[104:105], v[170:171]
	v_add_f64_e32 v[0:1], v[180:181], v[0:1]
	v_mul_f64_e32 v[96:97], s[6:7], v[96:97]
	v_fma_f64 v[110:111], v[110:111], s[14:15], -v[106:107]
	v_fma_f64 v[106:107], v[112:113], s[20:21], v[106:107]
	v_fma_f64 v[112:113], v[112:113], s[22:23], -v[114:115]
	v_mul_f64_e32 v[114:115], s[2:3], v[102:103]
	v_add_f64_e32 v[92:93], v[92:93], v[0:1]
	v_fma_f64 v[102:103], v[102:103], s[2:3], v[96:97]
	v_fma_f64 v[96:97], v[98:99], s[18:19], -v[96:97]
	v_fma_f64 v[106:107], v[104:105], s[26:27], v[106:107]
	v_fma_f64 v[110:111], v[104:105], s[26:27], v[110:111]
	v_fma_f64 v[98:99], v[98:99], s[16:17], -v[114:115]
	v_fma_f64 v[104:105], v[104:105], s[26:27], v[112:113]
	v_fma_f64 v[0:1], v[0:1], s[24:25], v[92:93]
	s_delay_alu instid0(VALU_DEP_1) | instskip(SKIP_2) | instid1(VALU_DEP_3)
	v_add_f64_e32 v[102:103], v[102:103], v[0:1]
	v_add_f64_e32 v[96:97], v[96:97], v[0:1]
	;; [unrolled: 1-line block ×3, first 2 shown]
	v_add_f64_e64 v[98:99], v[102:103], -v[106:107]
	s_delay_alu instid0(VALU_DEP_3) | instskip(NEXT) | instid1(VALU_DEP_3)
	v_add_f64_e64 v[112:113], v[96:97], -v[104:105]
	v_add_f64_e32 v[114:115], v[110:111], v[0:1]
	v_add_f64_e64 v[0:1], v[0:1], -v[110:111]
	v_add_f64_e64 v[110:111], v[162:163], -v[146:147]
	ds_store_2addr_b64 v218, v[92:93], v[98:99] offset1:1
	ds_store_2addr_b64 v218, v[112:113], v[114:115] offset0:2 offset1:3
	v_add_f64_e32 v[92:93], v[104:105], v[96:97]
	v_add_f64_e32 v[96:97], v[106:107], v[102:103]
	v_add_f64_e64 v[106:107], v[154:155], -v[162:163]
	v_add_f64_e64 v[102:103], v[156:157], -v[164:165]
	;; [unrolled: 1-line block ×3, first 2 shown]
	v_mul_f64_e32 v[114:115], s[14:15], v[110:111]
	v_add_f64_e32 v[104:105], v[154:155], v[162:163]
	v_add_f64_e64 v[98:99], v[164:165], -v[148:149]
	ds_store_2addr_b64 v218, v[0:1], v[92:93] offset0:4 offset1:5
	ds_store_b64 v218, v[96:97] offset:48
	v_add_f64_e32 v[0:1], v[164:165], v[148:149]
	v_add_f64_e64 v[92:93], v[148:149], -v[156:157]
	v_mul_f64_e32 v[106:107], s[12:13], v[106:107]
	v_add_f64_e32 v[104:105], v[104:105], v[146:147]
	s_delay_alu instid0(VALU_DEP_4) | instskip(NEXT) | instid1(VALU_DEP_4)
	v_add_f64_e32 v[0:1], v[156:157], v[0:1]
	v_mul_f64_e32 v[92:93], s[6:7], v[92:93]
	s_delay_alu instid0(VALU_DEP_4)
	v_fma_f64 v[110:111], v[110:111], s[14:15], -v[106:107]
	v_fma_f64 v[106:107], v[112:113], s[20:21], v[106:107]
	v_fma_f64 v[112:113], v[112:113], s[22:23], -v[114:115]
	v_mul_f64_e32 v[114:115], s[2:3], v[102:103]
	v_add_f64_e32 v[88:89], v[88:89], v[0:1]
	v_fma_f64 v[102:103], v[102:103], s[2:3], v[92:93]
	v_fma_f64 v[92:93], v[98:99], s[18:19], -v[92:93]
	v_fma_f64 v[106:107], v[104:105], s[26:27], v[106:107]
	v_fma_f64 v[110:111], v[104:105], s[26:27], v[110:111]
	v_fma_f64 v[98:99], v[98:99], s[16:17], -v[114:115]
	v_fma_f64 v[104:105], v[104:105], s[26:27], v[112:113]
	v_add_f64_e64 v[114:115], v[90:91], -v[86:87]
	v_fma_f64 v[0:1], v[0:1], s[24:25], v[88:89]
	s_delay_alu instid0(VALU_DEP_1) | instskip(SKIP_2) | instid1(VALU_DEP_3)
	v_add_f64_e32 v[102:103], v[102:103], v[0:1]
	v_add_f64_e32 v[92:93], v[92:93], v[0:1]
	;; [unrolled: 1-line block ×3, first 2 shown]
	v_add_f64_e64 v[96:97], v[102:103], -v[106:107]
	s_delay_alu instid0(VALU_DEP_3) | instskip(NEXT) | instid1(VALU_DEP_3)
	v_add_f64_e64 v[98:99], v[92:93], -v[104:105]
	v_add_f64_e32 v[112:113], v[110:111], v[0:1]
	v_add_f64_e64 v[0:1], v[0:1], -v[110:111]
	v_add_f64_e64 v[110:111], v[122:123], -v[130:131]
	ds_store_2addr_b64 v226, v[88:89], v[96:97] offset1:1
	ds_store_2addr_b64 v226, v[98:99], v[112:113] offset0:2 offset1:3
	v_add_f64_e32 v[88:89], v[104:105], v[92:93]
	v_add_f64_e32 v[92:93], v[106:107], v[102:103]
	v_add_f64_e64 v[104:105], v[130:131], -v[138:139]
	v_add_f64_e64 v[106:107], v[138:139], -v[122:123]
	;; [unrolled: 1-line block ×3, first 2 shown]
	v_add_f64_e32 v[102:103], v[130:131], v[138:139]
	v_add_f64_e64 v[96:97], v[140:141], -v[124:125]
	ds_store_2addr_b64 v226, v[0:1], v[88:89] offset0:4 offset1:5
	ds_store_b64 v226, v[92:93] offset:48
	v_add_f64_e32 v[0:1], v[140:141], v[124:125]
	v_add_f64_e64 v[88:89], v[124:125], -v[132:133]
	v_mul_f64_e32 v[104:105], s[12:13], v[104:105]
	v_mul_f64_e32 v[112:113], s[14:15], v[106:107]
	v_add_f64_e32 v[102:103], v[102:103], v[122:123]
	v_add_f64_e32 v[0:1], v[132:133], v[0:1]
	v_mul_f64_e32 v[88:89], s[6:7], v[88:89]
	v_fma_f64 v[106:107], v[106:107], s[14:15], -v[104:105]
	v_fma_f64 v[104:105], v[110:111], s[20:21], v[104:105]
	v_fma_f64 v[110:111], v[110:111], s[22:23], -v[112:113]
	v_mul_f64_e32 v[112:113], s[2:3], v[98:99]
	v_add_f64_e32 v[84:85], v[84:85], v[0:1]
	v_fma_f64 v[98:99], v[98:99], s[2:3], v[88:89]
	v_fma_f64 v[88:89], v[96:97], s[18:19], -v[88:89]
	v_fma_f64 v[104:105], v[102:103], s[26:27], v[104:105]
	v_fma_f64 v[106:107], v[102:103], s[26:27], v[106:107]
	v_fma_f64 v[96:97], v[96:97], s[16:17], -v[112:113]
	v_add_f64_e64 v[112:113], v[108:109], -v[116:117]
	v_fma_f64 v[102:103], v[102:103], s[26:27], v[110:111]
	v_fma_f64 v[0:1], v[0:1], s[24:25], v[84:85]
	s_delay_alu instid0(VALU_DEP_1) | instskip(SKIP_2) | instid1(VALU_DEP_3)
	v_add_f64_e32 v[98:99], v[98:99], v[0:1]
	v_add_f64_e32 v[88:89], v[88:89], v[0:1]
	;; [unrolled: 1-line block ×3, first 2 shown]
	v_add_f64_e64 v[92:93], v[98:99], -v[104:105]
	s_delay_alu instid0(VALU_DEP_3) | instskip(NEXT) | instid1(VALU_DEP_3)
	v_add_f64_e64 v[96:97], v[88:89], -v[102:103]
	v_add_f64_e32 v[110:111], v[106:107], v[0:1]
	v_add_f64_e64 v[0:1], v[0:1], -v[106:107]
	v_add_f64_e32 v[88:89], v[102:103], v[88:89]
	v_add_f64_e32 v[98:99], v[104:105], v[98:99]
	v_add_nc_u32_e32 v102, v226, v242
	ds_store_2addr_b64 v232, v[84:85], v[92:93] offset1:1
	v_add_f64_e32 v[84:85], v[116:117], v[100:101]
	v_add_f64_e64 v[92:93], v[100:101], -v[108:109]
	v_add_f64_e64 v[100:101], v[116:117], -v[100:101]
	s_delay_alu instid0(VALU_DEP_3)
	v_add_f64_e32 v[84:85], v[108:109], v[84:85]
	v_add_f64_e32 v[108:109], v[90:91], v[86:87]
	v_add_f64_e64 v[86:87], v[86:87], -v[94:95]
	v_add_f64_e64 v[90:91], v[94:95], -v[90:91]
	v_mul_f64_e32 v[92:93], s[6:7], v[92:93]
	v_add_f64_e32 v[2:3], v[2:3], v[84:85]
	v_add_f64_e32 v[94:95], v[108:109], v[94:95]
	v_mul_f64_e32 v[108:109], s[12:13], v[114:115]
	v_mul_f64_e32 v[114:115], s[14:15], v[86:87]
	s_delay_alu instid0(VALU_DEP_4) | instskip(NEXT) | instid1(VALU_DEP_3)
	v_fma_f64 v[84:85], v[84:85], s[24:25], v[2:3]
	v_fma_f64 v[86:87], v[86:87], s[14:15], -v[108:109]
	v_fma_f64 v[108:109], v[90:91], s[20:21], v[108:109]
	s_delay_alu instid0(VALU_DEP_4)
	v_fma_f64 v[90:91], v[90:91], s[22:23], -v[114:115]
	v_mul_f64_e32 v[114:115], s[2:3], v[112:113]
	v_fma_f64 v[112:113], v[112:113], s[2:3], v[92:93]
	v_fma_f64 v[92:93], v[100:101], s[18:19], -v[92:93]
	v_fma_f64 v[86:87], v[94:95], s[26:27], v[86:87]
	v_fma_f64 v[108:109], v[94:95], s[26:27], v[108:109]
	;; [unrolled: 1-line block ×3, first 2 shown]
	v_fma_f64 v[100:101], v[100:101], s[16:17], -v[114:115]
	v_add_f64_e32 v[92:93], v[92:93], v[84:85]
	s_delay_alu instid0(VALU_DEP_2) | instskip(SKIP_1) | instid1(VALU_DEP_3)
	v_add_f64_e32 v[94:95], v[100:101], v[84:85]
	v_add_f64_e32 v[84:85], v[112:113], v[84:85]
	;; [unrolled: 1-line block ×3, first 2 shown]
	s_delay_alu instid0(VALU_DEP_3)
	v_add_f64_e32 v[100:101], v[86:87], v[94:95]
	v_add_f64_e64 v[86:87], v[94:95], -v[86:87]
	v_add_f64_e64 v[94:95], v[92:93], -v[90:91]
	;; [unrolled: 1-line block ×3, first 2 shown]
	v_add_f64_e32 v[84:85], v[108:109], v[84:85]
	v_add_nc_u32_e32 v93, v218, v241
	v_add_nc_u32_e32 v92, 0, v240
	ds_store_2addr_b64 v232, v[96:97], v[110:111] offset0:2 offset1:3
	ds_store_2addr_b64 v232, v[0:1], v[88:89] offset0:4 offset1:5
	ds_store_b64 v232, v[98:99] offset:48
	ds_store_2addr_b64 v92, v[2:3], v[90:91] offset1:1
	ds_store_2addr_b64 v92, v[94:95], v[100:101] offset0:2 offset1:3
	ds_store_2addr_b64 v92, v[86:87], v[164:165] offset0:4 offset1:5
	ds_store_b64 v92, v[84:85] offset:48
	global_wb scope:SCOPE_SE
	s_wait_dscnt 0x0
	s_barrier_signal -1
	s_barrier_wait -1
	global_inv scope:SCOPE_SE
	ds_load_2addr_b64 v[156:159], v233 offset0:94 offset1:149
	ds_load_2addr_b64 v[128:131], v235 offset0:76 offset1:141
	;; [unrolled: 1-line block ×3, first 2 shown]
	s_clause 0x1
	scratch_store_b32 off, v102, off offset:4
	scratch_store_b32 off, v93, off
	ds_load_b64 v[166:167], v102
	ds_load_b64 v[168:169], v93
	ds_load_b64 v[232:233], v254 offset:14880
	ds_load_2addr_b64 v[116:119], v236 offset0:136 offset1:201
	ds_load_2addr_b64 v[108:111], v238 offset0:102 offset1:167
	;; [unrolled: 1-line block ×9, first 2 shown]
	ds_load_2addr_b64 v[112:115], v229 offset1:55
	ds_load_2addr_b64 v[104:107], v234 offset0:94 offset1:149
	ds_load_2addr_b64 v[0:3], v254 offset1:175
                                        ; implicit-def: $vgpr90_vgpr91
                                        ; implicit-def: $vgpr94_vgpr95
                                        ; implicit-def: $vgpr98_vgpr99
                                        ; implicit-def: $vgpr102_vgpr103
	s_and_saveexec_b32 s1, s0
	s_cbranch_execz .LBB0_17
; %bb.16:
	v_lshl_add_u32 v84, v255, 3, 0
	v_add_nc_u32_e32 v88, 0x1400, v254
	v_add_nc_u32_e32 v89, 0x2000, v254
	;; [unrolled: 1-line block ×4, first 2 shown]
	ds_load_b64 v[164:165], v84
	v_add_nc_u32_e32 v84, 0xa00, v254
	ds_load_2addr_b64 v[84:87], v84 offset0:20 offset1:195
	ds_load_2addr_b64 v[100:103], v88 offset0:50 offset1:225
	ds_load_2addr_b64 v[96:99], v89 offset0:16 offset1:191
	ds_load_2addr_b64 v[92:95], v90 offset0:46 offset1:221
	ds_load_2addr_b64 v[88:91], v91 offset0:76 offset1:251
.LBB0_17:
	s_wait_alu 0xfffe
	s_or_b32 exec_lo, exec_lo, s1
	v_and_b32_e32 v160, 0xff, v246
	s_mov_b32 s16, 0x8eee2c13
	s_mov_b32 s17, 0xbfed1bb4
	;; [unrolled: 1-line block ×4, first 2 shown]
	v_mul_lo_u16 v160, v160, 37
	s_mov_b32 s12, 0xbb3a28a1
	s_mov_b32 s13, 0xbfe82f19
	;; [unrolled: 1-line block ×4, first 2 shown]
	v_lshrrev_b16 v160, 8, v160
	s_mov_b32 s20, 0x43842ef
	s_mov_b32 s21, 0xbfefac9e
	;; [unrolled: 1-line block ×4, first 2 shown]
	v_sub_nc_u16 v161, v246, v160
	s_mov_b32 s22, 0xfd768dbf
	s_mov_b32 s23, 0xbfd207e7
	;; [unrolled: 1-line block ×3, first 2 shown]
	s_wait_alu 0xfffe
	s_mov_b32 s24, s22
	v_lshrrev_b16 v161, 1, v161
	s_mov_b32 s14, 0x9bcd5057
	s_mov_b32 s15, 0xbfeeb42a
	;; [unrolled: 1-line block ×4, first 2 shown]
	v_and_b32_e32 v161, 0x7f, v161
	s_mov_b32 s29, 0x3fefac9e
	s_mov_b32 s28, s20
	;; [unrolled: 1-line block ×4, first 2 shown]
	v_add_nc_u16 v160, v161, v160
	s_mov_b32 s30, 0x8764f0ba
	s_mov_b32 s31, 0x3feaeb8c
	;; [unrolled: 1-line block ×4, first 2 shown]
	v_lshrrev_b16 v190, 2, v160
	s_delay_alu instid0(VALU_DEP_1) | instskip(NEXT) | instid1(VALU_DEP_1)
	v_mul_lo_u16 v160, v190, 7
	v_sub_nc_u16 v160, v246, v160
	s_delay_alu instid0(VALU_DEP_1) | instskip(NEXT) | instid1(VALU_DEP_1)
	v_and_b32_e32 v191, 0xff, v160
	v_mul_u32_u24_e32 v160, 10, v191
	s_delay_alu instid0(VALU_DEP_1)
	v_lshlrev_b32_e32 v178, 4, v160
	s_clause 0x1
	global_load_b128 v[160:163], v178, s[4:5] offset:16
	global_load_b128 v[234:237], v178, s[4:5]
	s_wait_loadcnt_dscnt 0x111
	v_mul_f64_e32 v[170:171], v[156:157], v[162:163]
	s_delay_alu instid0(VALU_DEP_1) | instskip(SKIP_1) | instid1(VALU_DEP_1)
	v_fma_f64 v[210:211], v[80:81], v[160:161], -v[170:171]
	v_mul_f64_e32 v[80:81], v[80:81], v[162:163]
	v_fma_f64 v[162:163], v[156:157], v[160:161], v[80:81]
	v_and_b32_e32 v80, 0xff, v248
	s_delay_alu instid0(VALU_DEP_1) | instskip(NEXT) | instid1(VALU_DEP_1)
	v_mul_lo_u16 v80, v80, 37
	v_lshrrev_b16 v80, 8, v80
	s_delay_alu instid0(VALU_DEP_1) | instskip(NEXT) | instid1(VALU_DEP_1)
	v_sub_nc_u16 v81, v248, v80
	v_lshrrev_b16 v81, 1, v81
	s_delay_alu instid0(VALU_DEP_1) | instskip(NEXT) | instid1(VALU_DEP_1)
	v_and_b32_e32 v81, 0x7f, v81
	v_add_nc_u16 v80, v81, v80
	s_delay_alu instid0(VALU_DEP_1) | instskip(NEXT) | instid1(VALU_DEP_1)
	v_lshrrev_b16 v192, 2, v80
	v_mul_lo_u16 v80, v192, 7
	s_delay_alu instid0(VALU_DEP_1) | instskip(NEXT) | instid1(VALU_DEP_1)
	v_sub_nc_u16 v80, v248, v80
	v_and_b32_e32 v193, 0xff, v80
	s_delay_alu instid0(VALU_DEP_1) | instskip(NEXT) | instid1(VALU_DEP_1)
	v_mul_u32_u24_e32 v80, 10, v193
	v_lshlrev_b32_e32 v179, 4, v80
	s_clause 0x1
	global_load_b128 v[170:173], v179, s[4:5] offset:16
	global_load_b128 v[186:189], v179, s[4:5]
	s_wait_loadcnt 0x1
	v_mul_f64_e32 v[80:81], v[158:159], v[172:173]
	s_delay_alu instid0(VALU_DEP_1) | instskip(SKIP_1) | instid1(VALU_DEP_1)
	v_fma_f64 v[160:161], v[82:83], v[170:171], -v[80:81]
	v_mul_f64_e32 v[80:81], v[82:83], v[172:173]
	v_fma_f64 v[156:157], v[158:159], v[170:171], v[80:81]
	s_clause 0x1
	global_load_b128 v[80:83], v178, s[4:5] offset:48
	global_load_b128 v[194:197], v178, s[4:5] offset:32
	s_wait_loadcnt_dscnt 0x107
	v_mul_f64_e32 v[158:159], v[152:153], v[82:83]
	s_delay_alu instid0(VALU_DEP_1) | instskip(SKIP_1) | instid1(VALU_DEP_1)
	v_fma_f64 v[212:213], v[76:77], v[80:81], -v[158:159]
	v_mul_f64_e32 v[76:77], v[76:77], v[82:83]
	v_fma_f64 v[174:175], v[152:153], v[80:81], v[76:77]
	s_clause 0x1
	global_load_b128 v[80:83], v179, s[4:5] offset:48
	global_load_b128 v[198:201], v179, s[4:5] offset:32
	s_wait_loadcnt 0x1
	v_mul_f64_e32 v[76:77], v[154:155], v[82:83]
	s_delay_alu instid0(VALU_DEP_1) | instskip(SKIP_1) | instid1(VALU_DEP_1)
	v_fma_f64 v[158:159], v[78:79], v[80:81], -v[76:77]
	v_mul_f64_e32 v[76:77], v[78:79], v[82:83]
	v_fma_f64 v[152:153], v[154:155], v[80:81], v[76:77]
	s_clause 0x1
	global_load_b128 v[76:79], v178, s[4:5] offset:80
	global_load_b128 v[80:83], v178, s[4:5] offset:64
	s_wait_loadcnt 0x1
	;; [unrolled: 9-line block ×3, first 2 shown]
	v_mul_f64_e32 v[72:73], v[146:147], v[78:79]
	s_delay_alu instid0(VALU_DEP_1) | instskip(SKIP_1) | instid1(VALU_DEP_1)
	v_fma_f64 v[170:171], v[74:75], v[76:77], -v[72:73]
	v_mul_f64_e32 v[72:73], v[74:75], v[78:79]
	v_fma_f64 v[154:155], v[146:147], v[76:77], v[72:73]
	s_clause 0x1
	global_load_b128 v[72:75], v178, s[4:5] offset:112
	global_load_b128 v[76:79], v178, s[4:5] offset:96
	s_wait_loadcnt_dscnt 0x103
	v_mul_f64_e32 v[144:145], v[148:149], v[74:75]
	s_delay_alu instid0(VALU_DEP_1) | instskip(SKIP_1) | instid1(VALU_DEP_1)
	v_fma_f64 v[216:217], v[68:69], v[72:73], -v[144:145]
	v_mul_f64_e32 v[68:69], v[68:69], v[74:75]
	v_fma_f64 v[180:181], v[148:149], v[72:73], v[68:69]
	s_clause 0x1
	global_load_b128 v[72:75], v179, s[4:5] offset:112
	global_load_b128 v[238:241], v179, s[4:5] offset:96
	s_wait_loadcnt 0x1
	v_mul_f64_e32 v[68:69], v[150:151], v[74:75]
	s_delay_alu instid0(VALU_DEP_1) | instskip(SKIP_1) | instid1(VALU_DEP_1)
	v_fma_f64 v[172:173], v[70:71], v[72:73], -v[68:69]
	v_mul_f64_e32 v[68:69], v[70:71], v[74:75]
	v_fma_f64 v[146:147], v[150:151], v[72:73], v[68:69]
	s_clause 0x1
	global_load_b128 v[68:71], v178, s[4:5] offset:144
	global_load_b128 v[72:75], v178, s[4:5] offset:128
	s_wait_loadcnt 0x1
	;; [unrolled: 9-line block ×3, first 2 shown]
	v_mul_f64_e32 v[64:65], v[142:143], v[70:71]
	s_delay_alu instid0(VALU_DEP_1) | instskip(SKIP_1) | instid1(VALU_DEP_1)
	v_fma_f64 v[178:179], v[66:67], v[68:69], -v[64:65]
	v_mul_f64_e32 v[64:65], v[66:67], v[70:71]
	v_fma_f64 v[148:149], v[142:143], v[68:69], v[64:65]
	v_mul_f64_e32 v[64:65], v[136:137], v[188:189]
	s_delay_alu instid0(VALU_DEP_1) | instskip(SKIP_1) | instid1(VALU_DEP_1)
	v_fma_f64 v[182:183], v[60:61], v[186:187], -v[64:65]
	v_mul_f64_e32 v[60:61], v[60:61], v[188:189]
	v_fma_f64 v[150:151], v[136:137], v[186:187], v[60:61]
	v_and_b32_e32 v60, 0xff, v252
	s_delay_alu instid0(VALU_DEP_1) | instskip(NEXT) | instid1(VALU_DEP_1)
	v_mul_lo_u16 v60, v60, 37
	v_lshrrev_b16 v60, 8, v60
	s_delay_alu instid0(VALU_DEP_1) | instskip(NEXT) | instid1(VALU_DEP_1)
	v_sub_nc_u16 v61, v252, v60
	v_lshrrev_b16 v61, 1, v61
	s_delay_alu instid0(VALU_DEP_1) | instskip(NEXT) | instid1(VALU_DEP_1)
	v_and_b32_e32 v61, 0x7f, v61
	v_add_nc_u16 v60, v61, v60
	s_delay_alu instid0(VALU_DEP_1) | instskip(NEXT) | instid1(VALU_DEP_1)
	v_lshrrev_b16 v71, 2, v60
	v_mul_lo_u16 v60, v71, 7
	s_delay_alu instid0(VALU_DEP_1) | instskip(NEXT) | instid1(VALU_DEP_1)
	v_sub_nc_u16 v60, v252, v60
	v_and_b32_e32 v70, 0xff, v60
	s_delay_alu instid0(VALU_DEP_1) | instskip(NEXT) | instid1(VALU_DEP_1)
	v_mul_u32_u24_e32 v60, 10, v70
	v_lshlrev_b32_e32 v68, 4, v60
	s_clause 0x1
	global_load_b128 v[64:67], v68, s[4:5]
	global_load_b128 v[142:145], v68, s[4:5] offset:16
	s_wait_loadcnt 0x1
	v_mul_f64_e32 v[60:61], v[138:139], v[66:67]
	s_delay_alu instid0(VALU_DEP_1) | instskip(SKIP_1) | instid1(VALU_DEP_1)
	v_fma_f64 v[140:141], v[62:63], v[64:65], -v[60:61]
	v_mul_f64_e32 v[60:61], v[62:63], v[66:67]
	v_fma_f64 v[136:137], v[138:139], v[64:65], v[60:61]
	v_mul_f64_e32 v[60:61], v[130:131], v[196:197]
	s_delay_alu instid0(VALU_DEP_1) | instskip(SKIP_1) | instid1(VALU_DEP_1)
	v_fma_f64 v[226:227], v[58:59], v[194:195], -v[60:61]
	v_mul_f64_e32 v[58:59], v[58:59], v[196:197]
	v_fma_f64 v[196:197], v[130:131], v[194:195], v[58:59]
	s_wait_loadcnt 0x0
	v_mul_f64_e32 v[58:59], v[128:129], v[144:145]
	s_delay_alu instid0(VALU_DEP_1) | instskip(SKIP_1) | instid1(VALU_DEP_1)
	v_fma_f64 v[138:139], v[56:57], v[142:143], -v[58:59]
	v_mul_f64_e32 v[56:57], v[56:57], v[144:145]
	v_fma_f64 v[128:129], v[128:129], v[142:143], v[56:57]
	v_mul_f64_e32 v[56:57], v[132:133], v[200:201]
	s_delay_alu instid0(VALU_DEP_1) | instskip(SKIP_4) | instid1(VALU_DEP_1)
	v_fma_f64 v[188:189], v[52:53], v[198:199], -v[56:57]
	s_clause 0x1
	global_load_b128 v[56:59], v68, s[4:5] offset:32
	global_load_b128 v[60:63], v68, s[4:5] offset:48
	v_mul_f64_e32 v[52:53], v[52:53], v[200:201]
	v_fma_f64 v[186:187], v[132:133], v[198:199], v[52:53]
	s_wait_loadcnt 0x1
	v_mul_f64_e32 v[52:53], v[134:135], v[58:59]
	s_delay_alu instid0(VALU_DEP_1) | instskip(SKIP_1) | instid1(VALU_DEP_1)
	v_fma_f64 v[132:133], v[54:55], v[56:57], -v[52:53]
	v_mul_f64_e32 v[52:53], v[54:55], v[58:59]
	v_fma_f64 v[130:131], v[134:135], v[56:57], v[52:53]
	v_mul_f64_e32 v[52:53], v[126:127], v[82:83]
	s_delay_alu instid0(VALU_DEP_1) | instskip(SKIP_1) | instid1(VALU_DEP_1)
	v_fma_f64 v[52:53], v[50:51], v[80:81], -v[52:53]
	v_mul_f64_e32 v[50:51], v[50:51], v[82:83]
	v_fma_f64 v[202:203], v[126:127], v[80:81], v[50:51]
	s_wait_loadcnt 0x0
	v_mul_f64_e32 v[50:51], v[124:125], v[62:63]
	s_delay_alu instid0(VALU_DEP_1) | instskip(SKIP_1) | instid1(VALU_DEP_1)
	v_fma_f64 v[126:127], v[48:49], v[60:61], -v[50:51]
	v_mul_f64_e32 v[48:49], v[48:49], v[62:63]
	v_fma_f64 v[124:125], v[124:125], v[60:61], v[48:49]
	v_mul_f64_e32 v[48:49], v[120:121], v[206:207]
	s_delay_alu instid0(VALU_DEP_1) | instskip(SKIP_4) | instid1(VALU_DEP_1)
	v_fma_f64 v[64:65], v[44:45], v[204:205], -v[48:49]
	s_clause 0x1
	global_load_b128 v[48:51], v68, s[4:5] offset:64
	global_load_b128 v[54:57], v68, s[4:5] offset:80
	v_mul_f64_e32 v[44:45], v[44:45], v[206:207]
	v_fma_f64 v[62:63], v[120:121], v[204:205], v[44:45]
	s_wait_loadcnt 0x1
	v_mul_f64_e32 v[44:45], v[122:123], v[50:51]
	s_delay_alu instid0(VALU_DEP_1) | instskip(SKIP_1) | instid1(VALU_DEP_1)
	v_fma_f64 v[134:135], v[46:47], v[48:49], -v[44:45]
	v_mul_f64_e32 v[44:45], v[46:47], v[50:51]
	v_fma_f64 v[120:121], v[122:123], v[48:49], v[44:45]
	v_mul_f64_e32 v[44:45], v[118:119], v[78:79]
	s_delay_alu instid0(VALU_DEP_1) | instskip(SKIP_1) | instid1(VALU_DEP_1)
	v_fma_f64 v[44:45], v[42:43], v[76:77], -v[44:45]
	v_mul_f64_e32 v[42:43], v[42:43], v[78:79]
	v_fma_f64 v[204:205], v[118:119], v[76:77], v[42:43]
	s_wait_loadcnt 0x0
	v_mul_f64_e32 v[42:43], v[116:117], v[56:57]
	s_delay_alu instid0(VALU_DEP_1) | instskip(SKIP_1) | instid1(VALU_DEP_1)
	v_fma_f64 v[118:119], v[40:41], v[54:55], -v[42:43]
	v_mul_f64_e32 v[40:41], v[40:41], v[56:57]
	v_fma_f64 v[116:117], v[116:117], v[54:55], v[40:41]
	s_wait_dscnt 0x2
	v_mul_f64_e32 v[40:41], v[112:113], v[240:241]
	s_delay_alu instid0(VALU_DEP_1) | instskip(SKIP_4) | instid1(VALU_DEP_1)
	v_fma_f64 v[200:201], v[36:37], v[238:239], -v[40:41]
	s_clause 0x1
	global_load_b128 v[40:43], v68, s[4:5] offset:96
	global_load_b128 v[46:49], v68, s[4:5] offset:112
	v_mul_f64_e32 v[36:37], v[36:37], v[240:241]
	v_fma_f64 v[66:67], v[112:113], v[238:239], v[36:37]
	s_wait_loadcnt 0x1
	v_mul_f64_e32 v[36:37], v[114:115], v[42:43]
	s_delay_alu instid0(VALU_DEP_1) | instskip(SKIP_1) | instid1(VALU_DEP_1)
	v_fma_f64 v[122:123], v[38:39], v[40:41], -v[36:37]
	v_mul_f64_e32 v[36:37], v[38:39], v[42:43]
	v_fma_f64 v[112:113], v[114:115], v[40:41], v[36:37]
	v_mul_f64_e32 v[36:37], v[110:111], v[74:75]
	s_delay_alu instid0(VALU_DEP_1) | instskip(SKIP_1) | instid1(VALU_DEP_1)
	v_fma_f64 v[36:37], v[34:35], v[72:73], -v[36:37]
	v_mul_f64_e32 v[34:35], v[34:35], v[74:75]
	v_fma_f64 v[208:209], v[110:111], v[72:73], v[34:35]
	s_wait_loadcnt 0x0
	v_mul_f64_e32 v[34:35], v[108:109], v[48:49]
	s_delay_alu instid0(VALU_DEP_1) | instskip(SKIP_1) | instid1(VALU_DEP_1)
	v_fma_f64 v[142:143], v[32:33], v[46:47], -v[34:35]
	v_mul_f64_e32 v[32:33], v[32:33], v[48:49]
	v_fma_f64 v[110:111], v[108:109], v[46:47], v[32:33]
	s_wait_dscnt 0x1
	v_mul_f64_e32 v[32:33], v[104:105], v[244:245]
	s_delay_alu instid0(VALU_DEP_1) | instskip(SKIP_4) | instid1(VALU_DEP_1)
	v_fma_f64 v[206:207], v[28:29], v[242:243], -v[32:33]
	s_clause 0x1
	global_load_b128 v[32:35], v68, s[4:5] offset:128
	global_load_b128 v[38:41], v68, s[4:5] offset:144
	v_mul_f64_e32 v[28:29], v[28:29], v[244:245]
	v_fma_f64 v[198:199], v[104:105], v[242:243], v[28:29]
	s_wait_loadcnt 0x1
	v_mul_f64_e32 v[28:29], v[106:107], v[34:35]
	s_delay_alu instid0(VALU_DEP_1) | instskip(SKIP_1) | instid1(VALU_DEP_1)
	v_fma_f64 v[144:145], v[30:31], v[32:33], -v[28:29]
	v_mul_f64_e32 v[28:29], v[30:31], v[34:35]
	v_fma_f64 v[114:115], v[106:107], v[32:33], v[28:29]
	v_and_b32_e32 v28, 0xff, v255
	s_delay_alu instid0(VALU_DEP_1) | instskip(NEXT) | instid1(VALU_DEP_1)
	v_mul_lo_u16 v28, v28, 37
	v_lshrrev_b16 v28, 8, v28
	s_delay_alu instid0(VALU_DEP_1) | instskip(NEXT) | instid1(VALU_DEP_1)
	v_sub_nc_u16 v29, v255, v28
	v_lshrrev_b16 v29, 1, v29
	s_delay_alu instid0(VALU_DEP_1) | instskip(NEXT) | instid1(VALU_DEP_1)
	v_and_b32_e32 v29, 0x7f, v29
	v_add_nc_u16 v28, v29, v28
	s_delay_alu instid0(VALU_DEP_1) | instskip(NEXT) | instid1(VALU_DEP_1)
	v_lshrrev_b16 v58, 2, v28
	v_mul_lo_u16 v28, v58, 7
	s_delay_alu instid0(VALU_DEP_1) | instskip(NEXT) | instid1(VALU_DEP_1)
	v_sub_nc_u16 v28, v255, v28
	v_and_b32_e32 v59, 0xff, v28
	s_delay_alu instid0(VALU_DEP_1) | instskip(NEXT) | instid1(VALU_DEP_1)
	v_mul_u32_u24_e32 v28, 10, v59
	v_lshlrev_b32_e32 v46, 4, v28
	s_clause 0x1
	global_load_b128 v[28:31], v46, s[4:5]
	global_load_b128 v[32:35], v46, s[4:5] offset:16
	s_wait_loadcnt 0x1
	v_mul_f64_e32 v[42:43], v[84:85], v[30:31]
	s_delay_alu instid0(VALU_DEP_1) | instskip(SKIP_1) | instid1(VALU_DEP_1)
	v_fma_f64 v[42:43], v[8:9], v[28:29], -v[42:43]
	v_mul_f64_e32 v[8:9], v[8:9], v[30:31]
	v_fma_f64 v[8:9], v[84:85], v[28:29], v[8:9]
	scratch_store_b64 off, v[8:9], off offset:168 ; 8-byte Folded Spill
	s_wait_loadcnt 0x0
	v_mul_f64_e32 v[8:9], v[86:87], v[34:35]
	s_delay_alu instid0(VALU_DEP_1) | instskip(SKIP_2) | instid1(VALU_DEP_1)
	v_fma_f64 v[8:9], v[10:11], v[32:33], -v[8:9]
	scratch_store_b64 off, v[8:9], off offset:144 ; 8-byte Folded Spill
	v_mul_f64_e32 v[8:9], v[10:11], v[34:35]
	v_fma_f64 v[8:9], v[86:87], v[32:33], v[8:9]
	s_clause 0x1
	scratch_store_b64 off, v[42:43], off offset:160
	scratch_store_b64 off, v[8:9], off offset:120
	s_clause 0x1
	global_load_b128 v[8:11], v46, s[4:5] offset:32
	global_load_b128 v[28:31], v46, s[4:5] offset:48
	s_wait_loadcnt 0x1
	v_mul_f64_e32 v[32:33], v[100:101], v[10:11]
	v_mul_f64_e32 v[10:11], v[24:25], v[10:11]
	s_delay_alu instid0(VALU_DEP_2) | instskip(NEXT) | instid1(VALU_DEP_2)
	v_fma_f64 v[32:33], v[24:25], v[8:9], -v[32:33]
	v_fma_f64 v[8:9], v[100:101], v[8:9], v[10:11]
	scratch_store_b64 off, v[8:9], off offset:112 ; 8-byte Folded Spill
	s_wait_loadcnt 0x0
	v_mul_f64_e32 v[8:9], v[102:103], v[30:31]
	s_delay_alu instid0(VALU_DEP_1) | instskip(SKIP_2) | instid1(VALU_DEP_1)
	v_fma_f64 v[8:9], v[26:27], v[28:29], -v[8:9]
	scratch_store_b64 off, v[8:9], off offset:96 ; 8-byte Folded Spill
	v_mul_f64_e32 v[8:9], v[26:27], v[30:31]
	v_fma_f64 v[8:9], v[102:103], v[28:29], v[8:9]
	s_clause 0x1
	scratch_store_b64 off, v[32:33], off offset:128
	scratch_store_b64 off, v[8:9], off offset:88
	s_clause 0x1
	global_load_b128 v[8:11], v46, s[4:5] offset:64
	global_load_b128 v[24:27], v46, s[4:5] offset:80
	s_wait_loadcnt 0x1
	v_mul_f64_e32 v[28:29], v[96:97], v[10:11]
	v_mul_f64_e32 v[10:11], v[20:21], v[10:11]
	s_delay_alu instid0(VALU_DEP_2) | instskip(NEXT) | instid1(VALU_DEP_2)
	v_fma_f64 v[28:29], v[20:21], v[8:9], -v[28:29]
	v_fma_f64 v[8:9], v[96:97], v[8:9], v[10:11]
	s_clause 0x1
	scratch_store_b64 off, v[28:29], off offset:72
	scratch_store_b64 off, v[8:9], off offset:48
	s_wait_loadcnt 0x0
	v_mul_f64_e32 v[8:9], v[98:99], v[26:27]
	s_delay_alu instid0(VALU_DEP_1) | instskip(SKIP_2) | instid1(VALU_DEP_1)
	v_fma_f64 v[8:9], v[22:23], v[24:25], -v[8:9]
	scratch_store_b64 off, v[8:9], off offset:80 ; 8-byte Folded Spill
	v_mul_f64_e32 v[8:9], v[22:23], v[26:27]
	v_fma_f64 v[8:9], v[98:99], v[24:25], v[8:9]
	scratch_store_b64 off, v[8:9], off offset:56 ; 8-byte Folded Spill
	s_clause 0x1
	global_load_b128 v[8:11], v46, s[4:5] offset:96
	global_load_b128 v[20:23], v46, s[4:5] offset:112
	s_wait_loadcnt 0x1
	v_mul_f64_e32 v[24:25], v[92:93], v[10:11]
	v_mul_f64_e32 v[10:11], v[16:17], v[10:11]
	s_delay_alu instid0(VALU_DEP_2) | instskip(NEXT) | instid1(VALU_DEP_2)
	v_fma_f64 v[24:25], v[16:17], v[8:9], -v[24:25]
	v_fma_f64 v[8:9], v[92:93], v[8:9], v[10:11]
	scratch_store_b64 off, v[8:9], off offset:64 ; 8-byte Folded Spill
	s_wait_loadcnt 0x0
	v_mul_f64_e32 v[8:9], v[94:95], v[22:23]
	s_delay_alu instid0(VALU_DEP_1) | instskip(SKIP_2) | instid1(VALU_DEP_1)
	v_fma_f64 v[8:9], v[18:19], v[20:21], -v[8:9]
	scratch_store_b64 off, v[8:9], off offset:136 ; 8-byte Folded Spill
	v_mul_f64_e32 v[8:9], v[18:19], v[22:23]
	v_fma_f64 v[8:9], v[94:95], v[20:21], v[8:9]
	s_clause 0x1
	scratch_store_b64 off, v[24:25], off offset:104
	scratch_store_b64 off, v[8:9], off offset:40
	s_clause 0x1
	global_load_b128 v[8:11], v46, s[4:5] offset:128
	global_load_b128 v[16:19], v46, s[4:5] offset:144
	s_wait_loadcnt_dscnt 0x100
	v_mul_f64_e32 v[20:21], v[88:89], v[10:11]
	v_mul_f64_e32 v[10:11], v[12:13], v[10:11]
	s_delay_alu instid0(VALU_DEP_2) | instskip(NEXT) | instid1(VALU_DEP_2)
	v_fma_f64 v[20:21], v[12:13], v[8:9], -v[20:21]
	v_fma_f64 v[8:9], v[88:89], v[8:9], v[10:11]
	scratch_store_b64 off, v[8:9], off offset:32 ; 8-byte Folded Spill
	s_wait_loadcnt 0x0
	v_mul_f64_e32 v[8:9], v[90:91], v[18:19]
	s_delay_alu instid0(VALU_DEP_1) | instskip(SKIP_2) | instid1(VALU_DEP_1)
	v_fma_f64 v[8:9], v[14:15], v[16:17], -v[8:9]
	scratch_store_b64 off, v[8:9], off offset:176 ; 8-byte Folded Spill
	v_mul_f64_e32 v[8:9], v[14:15], v[18:19]
	v_fma_f64 v[8:9], v[90:91], v[16:17], v[8:9]
	scratch_store_b64 off, v[20:21], off offset:152 ; 8-byte Folded Spill
	v_add_f64_e64 v[16:17], v[162:163], -v[208:209]
	scratch_store_b64 off, v[8:9], off offset:16 ; 8-byte Folded Spill
	v_mul_f64_e32 v[8:9], v[232:233], v[40:41]
	v_mul_f64_e32 v[18:19], s[12:13], v[16:17]
	global_wb scope:SCOPE_SE
	s_wait_storecnt 0x0
	s_barrier_signal -1
	s_barrier_wait -1
	global_inv scope:SCOPE_SE
	s_wait_alu 0xfffe
	v_mul_f64_e32 v[96:97], s[28:29], v[16:17]
	v_mul_f64_e32 v[102:103], s[36:37], v[16:17]
	s_clause 0x4
	scratch_store_b64 off, v[136:137], off offset:184
	scratch_store_b64 off, v[128:129], off offset:192
	;; [unrolled: 1-line block ×5, first 2 shown]
	v_fma_f64 v[60:61], v[230:231], v[38:39], -v[8:9]
	v_mul_f64_e32 v[8:9], v[230:231], v[40:41]
	s_delay_alu instid0(VALU_DEP_1) | instskip(SKIP_1) | instid1(VALU_DEP_1)
	v_fma_f64 v[90:91], v[232:233], v[38:39], v[8:9]
	v_mul_f64_e32 v[8:9], v[6:7], v[236:237]
	v_fma_f64 v[8:9], v[2:3], v[234:235], v[8:9]
	v_mul_f64_e32 v[2:3], v[2:3], v[236:237]
	s_delay_alu instid0(VALU_DEP_2) | instskip(NEXT) | instid1(VALU_DEP_2)
	v_add_f64_e64 v[10:11], v[8:9], -v[184:185]
	v_fma_f64 v[2:3], v[6:7], v[234:235], -v[2:3]
	s_delay_alu instid0(VALU_DEP_2) | instskip(NEXT) | instid1(VALU_DEP_2)
	v_mul_f64_e32 v[12:13], s[16:17], v[10:11]
	v_add_f64_e32 v[6:7], v[2:3], v[228:229]
	s_delay_alu instid0(VALU_DEP_1) | instskip(SKIP_1) | instid1(VALU_DEP_2)
	v_fma_f64 v[14:15], v[6:7], s[2:3], -v[12:13]
	v_fma_f64 v[12:13], v[6:7], s[2:3], v[12:13]
	v_add_f64_e32 v[20:21], v[4:5], v[14:15]
	v_add_f64_e32 v[14:15], v[210:211], v[36:37]
	s_delay_alu instid0(VALU_DEP_3) | instskip(NEXT) | instid1(VALU_DEP_2)
	v_add_f64_e32 v[12:13], v[4:5], v[12:13]
	v_fma_f64 v[22:23], v[14:15], s[6:7], -v[18:19]
	v_fma_f64 v[98:99], v[14:15], s[18:19], -v[96:97]
	v_fma_f64 v[18:19], v[14:15], s[6:7], v[18:19]
	s_delay_alu instid0(VALU_DEP_3) | instskip(SKIP_1) | instid1(VALU_DEP_3)
	v_add_f64_e32 v[30:31], v[22:23], v[20:21]
	v_mul_f64_e32 v[20:21], s[20:21], v[10:11]
	v_add_f64_e32 v[12:13], v[18:19], v[12:13]
	s_delay_alu instid0(VALU_DEP_2) | instskip(SKIP_1) | instid1(VALU_DEP_2)
	v_fma_f64 v[22:23], v[6:7], s[18:19], -v[20:21]
	v_fma_f64 v[18:19], v[6:7], s[18:19], v[20:21]
	v_add_f64_e32 v[24:25], v[4:5], v[22:23]
	v_mul_f64_e32 v[22:23], s[24:25], v[16:17]
	s_delay_alu instid0(VALU_DEP_3) | instskip(NEXT) | instid1(VALU_DEP_2)
	v_add_f64_e32 v[18:19], v[4:5], v[18:19]
	v_fma_f64 v[26:27], v[14:15], s[14:15], -v[22:23]
	v_fma_f64 v[20:21], v[14:15], s[14:15], v[22:23]
	s_delay_alu instid0(VALU_DEP_2) | instskip(SKIP_2) | instid1(VALU_DEP_4)
	v_add_f64_e32 v[32:33], v[26:27], v[24:25]
	v_add_f64_e64 v[26:27], v[196:197], -v[180:181]
	v_add_f64_e32 v[24:25], v[226:227], v[216:217]
	v_add_f64_e32 v[18:19], v[20:21], v[18:19]
	s_delay_alu instid0(VALU_DEP_3) | instskip(NEXT) | instid1(VALU_DEP_1)
	v_mul_f64_e32 v[28:29], s[24:25], v[26:27]
	v_fma_f64 v[34:35], v[24:25], s[14:15], -v[28:29]
	v_fma_f64 v[20:21], v[24:25], s[14:15], v[28:29]
	s_delay_alu instid0(VALU_DEP_2) | instskip(SKIP_1) | instid1(VALU_DEP_3)
	v_add_f64_e32 v[40:41], v[34:35], v[30:31]
	v_mul_f64_e32 v[30:31], s[26:27], v[26:27]
	v_add_f64_e32 v[12:13], v[20:21], v[12:13]
	s_delay_alu instid0(VALU_DEP_2) | instskip(SKIP_1) | instid1(VALU_DEP_2)
	v_fma_f64 v[34:35], v[24:25], s[2:3], -v[30:31]
	v_fma_f64 v[20:21], v[24:25], s[2:3], v[30:31]
	v_add_f64_e32 v[42:43], v[34:35], v[32:33]
	v_add_f64_e64 v[34:35], v[174:175], -v[204:205]
	v_add_f64_e32 v[32:33], v[212:213], v[44:45]
	s_delay_alu instid0(VALU_DEP_4) | instskip(NEXT) | instid1(VALU_DEP_3)
	v_add_f64_e32 v[18:19], v[20:21], v[18:19]
	v_mul_f64_e32 v[38:39], s[28:29], v[34:35]
	s_delay_alu instid0(VALU_DEP_1) | instskip(SKIP_1) | instid1(VALU_DEP_2)
	v_fma_f64 v[46:47], v[32:33], s[18:19], -v[38:39]
	v_fma_f64 v[20:21], v[32:33], s[18:19], v[38:39]
	v_add_f64_e32 v[50:51], v[46:47], v[40:41]
	v_mul_f64_e32 v[40:41], s[34:35], v[34:35]
	s_delay_alu instid0(VALU_DEP_3) | instskip(NEXT) | instid1(VALU_DEP_2)
	v_add_f64_e32 v[12:13], v[20:21], v[12:13]
	v_fma_f64 v[46:47], v[32:33], s[30:31], -v[40:41]
	v_fma_f64 v[20:21], v[32:33], s[30:31], v[40:41]
	s_delay_alu instid0(VALU_DEP_2) | instskip(SKIP_2) | instid1(VALU_DEP_4)
	v_add_f64_e32 v[56:57], v[46:47], v[42:43]
	v_add_f64_e64 v[46:47], v[202:203], -v[176:177]
	v_add_f64_e32 v[42:43], v[52:53], v[214:215]
	v_add_f64_e32 v[18:19], v[20:21], v[18:19]
	s_delay_alu instid0(VALU_DEP_3) | instskip(NEXT) | instid1(VALU_DEP_1)
	v_mul_f64_e32 v[48:49], s[36:37], v[46:47]
	v_fma_f64 v[54:55], v[42:43], s[30:31], -v[48:49]
	v_fma_f64 v[20:21], v[42:43], s[30:31], v[48:49]
	s_delay_alu instid0(VALU_DEP_2) | instskip(SKIP_1) | instid1(VALU_DEP_3)
	v_add_f64_e32 v[54:55], v[54:55], v[50:51]
	v_mul_f64_e32 v[50:51], s[12:13], v[46:47]
	v_add_f64_e32 v[12:13], v[20:21], v[12:13]
	s_delay_alu instid0(VALU_DEP_2) | instskip(SKIP_1) | instid1(VALU_DEP_2)
	v_fma_f64 v[68:69], v[42:43], s[6:7], -v[50:51]
	v_fma_f64 v[20:21], v[42:43], s[6:7], v[50:51]
	v_add_f64_e32 v[56:57], v[68:69], v[56:57]
	v_and_b32_e32 v68, 0xffff, v190
	v_lshlrev_b32_e32 v69, 3, v191
	v_fma_f64 v[190:191], v[14:15], s[30:31], -v[102:103]
	v_add_f64_e32 v[18:19], v[20:21], v[18:19]
	s_delay_alu instid0(VALU_DEP_4) | instskip(NEXT) | instid1(VALU_DEP_1)
	v_mul_u32_u24_e32 v68, 0x268, v68
	v_add3_u32 v68, 0, v68, v69
	ds_store_2addr_b64 v68, v[54:55], v[56:57] offset0:14 offset1:21
	v_mul_f64_e32 v[54:55], s[12:13], v[10:11]
	ds_store_2addr_b64 v68, v[18:19], v[12:13] offset0:56 offset1:63
	v_fma_f64 v[56:57], v[6:7], s[6:7], -v[54:55]
	v_fma_f64 v[54:55], v[6:7], s[6:7], v[54:55]
	s_delay_alu instid0(VALU_DEP_2) | instskip(NEXT) | instid1(VALU_DEP_2)
	v_add_f64_e32 v[56:57], v[4:5], v[56:57]
	v_add_f64_e32 v[54:55], v[4:5], v[54:55]
	s_delay_alu instid0(VALU_DEP_2) | instskip(SKIP_2) | instid1(VALU_DEP_2)
	v_add_f64_e32 v[56:57], v[98:99], v[56:57]
	v_mul_f64_e32 v[98:99], s[22:23], v[10:11]
	v_mul_f64_e32 v[10:11], s[34:35], v[10:11]
	v_fma_f64 v[100:101], v[6:7], s[14:15], -v[98:99]
	s_delay_alu instid0(VALU_DEP_2) | instskip(NEXT) | instid1(VALU_DEP_2)
	v_fma_f64 v[12:13], v[6:7], s[30:31], -v[10:11]
	v_add_f64_e32 v[100:101], v[4:5], v[100:101]
	s_delay_alu instid0(VALU_DEP_1) | instskip(SKIP_1) | instid1(VALU_DEP_1)
	v_add_f64_e32 v[100:101], v[190:191], v[100:101]
	v_mul_f64_e32 v[190:191], s[34:35], v[26:27]
	v_fma_f64 v[194:195], v[24:25], s[30:31], -v[190:191]
	s_delay_alu instid0(VALU_DEP_1) | instskip(SKIP_1) | instid1(VALU_DEP_1)
	v_add_f64_e32 v[56:57], v[194:195], v[56:57]
	v_mul_f64_e32 v[194:195], s[12:13], v[26:27]
	v_fma_f64 v[230:231], v[24:25], s[6:7], -v[194:195]
	;; [unrolled: 4-line block ×6, first 2 shown]
	s_delay_alu instid0(VALU_DEP_1) | instskip(SKIP_3) | instid1(VALU_DEP_2)
	v_add_f64_e32 v[100:101], v[238:239], v[100:101]
	ds_store_2addr_b64 v68, v[56:57], v[100:101] offset0:28 offset1:35
	v_fma_f64 v[56:57], v[14:15], s[18:19], v[96:97]
	v_fma_f64 v[96:97], v[14:15], s[30:31], v[102:103]
	v_add_f64_e32 v[54:55], v[56:57], v[54:55]
	v_fma_f64 v[56:57], v[6:7], s[14:15], v[98:99]
	v_fma_f64 v[6:7], v[6:7], s[30:31], v[10:11]
	v_add_f64_e32 v[10:11], v[4:5], v[12:13]
	v_mul_f64_e32 v[12:13], s[16:17], v[16:17]
	s_delay_alu instid0(VALU_DEP_4) | instskip(NEXT) | instid1(VALU_DEP_4)
	v_add_f64_e32 v[56:57], v[4:5], v[56:57]
	v_add_f64_e32 v[6:7], v[4:5], v[6:7]
	;; [unrolled: 1-line block ×3, first 2 shown]
	s_delay_alu instid0(VALU_DEP_4) | instskip(NEXT) | instid1(VALU_DEP_4)
	v_fma_f64 v[16:17], v[14:15], s[2:3], -v[12:13]
	v_add_f64_e32 v[56:57], v[96:97], v[56:57]
	v_fma_f64 v[96:97], v[24:25], s[30:31], v[190:191]
	s_delay_alu instid0(VALU_DEP_4) | instskip(NEXT) | instid1(VALU_DEP_4)
	v_add_f64_e32 v[4:5], v[4:5], v[210:211]
	v_add_f64_e32 v[10:11], v[16:17], v[10:11]
	v_mul_f64_e32 v[16:17], s[20:21], v[26:27]
	s_delay_alu instid0(VALU_DEP_4) | instskip(NEXT) | instid1(VALU_DEP_4)
	v_add_f64_e32 v[54:55], v[96:97], v[54:55]
	v_add_f64_e32 v[4:5], v[4:5], v[226:227]
	v_fma_f64 v[96:97], v[24:25], s[6:7], v[194:195]
	s_delay_alu instid0(VALU_DEP_4) | instskip(NEXT) | instid1(VALU_DEP_3)
	v_fma_f64 v[18:19], v[24:25], s[18:19], -v[16:17]
	v_add_f64_e32 v[4:5], v[4:5], v[212:213]
	s_delay_alu instid0(VALU_DEP_3) | instskip(NEXT) | instid1(VALU_DEP_3)
	v_add_f64_e32 v[56:57], v[96:97], v[56:57]
	v_add_f64_e32 v[10:11], v[18:19], v[10:11]
	v_mul_f64_e32 v[18:19], s[12:13], v[34:35]
	v_fma_f64 v[96:97], v[32:33], s[14:15], v[230:231]
	v_add_f64_e32 v[4:5], v[4:5], v[52:53]
	s_delay_alu instid0(VALU_DEP_3) | instskip(NEXT) | instid1(VALU_DEP_3)
	v_fma_f64 v[20:21], v[32:33], s[6:7], -v[18:19]
	v_add_f64_e32 v[54:55], v[96:97], v[54:55]
	v_fma_f64 v[96:97], v[32:33], s[2:3], v[232:233]
	s_delay_alu instid0(VALU_DEP_4) | instskip(NEXT) | instid1(VALU_DEP_4)
	v_add_f64_e32 v[4:5], v[4:5], v[214:215]
	v_add_f64_e32 v[10:11], v[20:21], v[10:11]
	v_mul_f64_e32 v[20:21], s[22:23], v[46:47]
	s_delay_alu instid0(VALU_DEP_4) | instskip(SKIP_2) | instid1(VALU_DEP_4)
	v_add_f64_e32 v[56:57], v[96:97], v[56:57]
	v_fma_f64 v[96:97], v[42:43], s[2:3], v[234:235]
	v_add_f64_e32 v[4:5], v[4:5], v[44:45]
	v_fma_f64 v[22:23], v[42:43], s[14:15], -v[20:21]
	s_delay_alu instid0(VALU_DEP_3) | instskip(SKIP_1) | instid1(VALU_DEP_4)
	v_add_f64_e32 v[54:55], v[96:97], v[54:55]
	v_fma_f64 v[96:97], v[42:43], s[18:19], v[236:237]
	v_add_f64_e32 v[4:5], v[4:5], v[216:217]
	s_delay_alu instid0(VALU_DEP_4) | instskip(SKIP_1) | instid1(VALU_DEP_4)
	v_add_f64_e32 v[10:11], v[22:23], v[10:11]
	v_add_f64_e64 v[22:23], v[156:157], -v[198:199]
	v_add_f64_e32 v[56:57], v[96:97], v[56:57]
	s_delay_alu instid0(VALU_DEP_4) | instskip(NEXT) | instid1(VALU_DEP_3)
	v_add_f64_e32 v[4:5], v[4:5], v[36:37]
	v_mul_f64_e32 v[26:27], s[16:17], v[22:23]
	v_mul_f64_e32 v[50:51], s[24:25], v[22:23]
	ds_store_2addr_b64 v68, v[56:57], v[54:55] offset0:42 offset1:49
	v_add_f64_e32 v[4:5], v[4:5], v[228:229]
	ds_store_2addr_b64 v68, v[4:5], v[10:11] offset1:7
	v_fma_f64 v[4:5], v[14:15], s[2:3], v[12:13]
	v_fma_f64 v[10:11], v[24:25], s[18:19], v[16:17]
	;; [unrolled: 1-line block ×4, first 2 shown]
	v_add_f64_e32 v[16:17], v[182:183], v[178:179]
	v_add_f64_e32 v[24:25], v[160:161], v[206:207]
	;; [unrolled: 1-line block ×3, first 2 shown]
	v_add_f64_e64 v[6:7], v[150:151], -v[148:149]
	s_delay_alu instid0(VALU_DEP_3) | instskip(SKIP_1) | instid1(VALU_DEP_4)
	v_fma_f64 v[28:29], v[24:25], s[2:3], -v[26:27]
	v_fma_f64 v[54:55], v[24:25], s[14:15], -v[50:51]
	v_add_f64_e32 v[4:5], v[10:11], v[4:5]
	s_delay_alu instid0(VALU_DEP_4) | instskip(SKIP_1) | instid1(VALU_DEP_3)
	v_mul_f64_e32 v[18:19], s[34:35], v[6:7]
	v_add_f64_e64 v[10:11], v[186:187], -v[146:147]
	v_add_f64_e32 v[4:5], v[12:13], v[4:5]
	s_delay_alu instid0(VALU_DEP_3) | instskip(NEXT) | instid1(VALU_DEP_3)
	v_fma_f64 v[20:21], v[16:17], s[30:31], -v[18:19]
	v_mul_f64_e32 v[30:31], s[20:21], v[10:11]
	v_add_f64_e64 v[12:13], v[152:153], -v[66:67]
	s_delay_alu instid0(VALU_DEP_4) | instskip(NEXT) | instid1(VALU_DEP_4)
	v_add_f64_e32 v[4:5], v[14:15], v[4:5]
	v_add_f64_e32 v[20:21], v[224:225], v[20:21]
	v_add_f64_e64 v[14:15], v[62:63], -v[154:155]
	s_delay_alu instid0(VALU_DEP_4)
	v_mul_f64_e32 v[34:35], s[12:13], v[12:13]
	ds_store_b64 v68, v[4:5] offset:560
	v_and_b32_e32 v4, 0xffff, v192
	v_lshlrev_b32_e32 v5, 3, v193
	v_add_f64_e32 v[20:21], v[28:29], v[20:21]
	v_add_f64_e32 v[28:29], v[188:189], v[172:173]
	v_mul_f64_e32 v[40:41], s[22:23], v[14:15]
	v_mul_u32_u24_e32 v4, 0x268, v4
	s_delay_alu instid0(VALU_DEP_1) | instskip(SKIP_2) | instid1(VALU_DEP_2)
	v_add3_u32 v69, 0, v4, v5
	v_add_f64_e32 v[4:5], v[224:225], v[182:183]
	v_fma_f64 v[32:33], v[28:29], s[18:19], -v[30:31]
	v_add_f64_e32 v[4:5], v[4:5], v[160:161]
	s_delay_alu instid0(VALU_DEP_2) | instskip(SKIP_1) | instid1(VALU_DEP_3)
	v_add_f64_e32 v[20:21], v[32:33], v[20:21]
	v_add_f64_e32 v[32:33], v[158:159], v[200:201]
	;; [unrolled: 1-line block ×3, first 2 shown]
	s_delay_alu instid0(VALU_DEP_2) | instskip(NEXT) | instid1(VALU_DEP_2)
	v_fma_f64 v[38:39], v[32:33], s[6:7], -v[34:35]
	v_add_f64_e32 v[4:5], v[4:5], v[158:159]
	s_delay_alu instid0(VALU_DEP_2) | instskip(SKIP_1) | instid1(VALU_DEP_3)
	v_add_f64_e32 v[20:21], v[38:39], v[20:21]
	v_add_f64_e32 v[38:39], v[64:65], v[170:171]
	;; [unrolled: 1-line block ×3, first 2 shown]
	s_delay_alu instid0(VALU_DEP_2) | instskip(NEXT) | instid1(VALU_DEP_2)
	v_fma_f64 v[42:43], v[38:39], s[14:15], -v[40:41]
	v_add_f64_e32 v[4:5], v[4:5], v[170:171]
	s_delay_alu instid0(VALU_DEP_2) | instskip(SKIP_1) | instid1(VALU_DEP_3)
	v_add_f64_e32 v[20:21], v[42:43], v[20:21]
	v_mul_f64_e32 v[42:43], s[12:13], v[22:23]
	v_add_f64_e32 v[4:5], v[4:5], v[200:201]
	s_delay_alu instid0(VALU_DEP_2) | instskip(NEXT) | instid1(VALU_DEP_2)
	v_fma_f64 v[46:47], v[24:25], s[6:7], -v[42:43]
	v_add_f64_e32 v[4:5], v[4:5], v[172:173]
	s_delay_alu instid0(VALU_DEP_1) | instskip(NEXT) | instid1(VALU_DEP_1)
	v_add_f64_e32 v[4:5], v[4:5], v[206:207]
	v_add_f64_e32 v[4:5], v[4:5], v[178:179]
	ds_store_2addr_b64 v69, v[4:5], v[20:21] offset1:7
	v_mul_f64_e32 v[4:5], s[16:17], v[6:7]
	s_delay_alu instid0(VALU_DEP_1) | instskip(SKIP_1) | instid1(VALU_DEP_2)
	v_fma_f64 v[20:21], v[16:17], s[2:3], -v[4:5]
	v_fma_f64 v[4:5], v[16:17], s[2:3], v[4:5]
	v_add_f64_e32 v[20:21], v[224:225], v[20:21]
	s_delay_alu instid0(VALU_DEP_2) | instskip(NEXT) | instid1(VALU_DEP_2)
	v_add_f64_e32 v[4:5], v[224:225], v[4:5]
	v_add_f64_e32 v[20:21], v[46:47], v[20:21]
	v_mul_f64_e32 v[46:47], s[20:21], v[6:7]
	s_delay_alu instid0(VALU_DEP_1) | instskip(NEXT) | instid1(VALU_DEP_1)
	v_fma_f64 v[48:49], v[16:17], s[18:19], -v[46:47]
	v_add_f64_e32 v[48:49], v[224:225], v[48:49]
	s_delay_alu instid0(VALU_DEP_1) | instskip(SKIP_1) | instid1(VALU_DEP_1)
	v_add_f64_e32 v[48:49], v[54:55], v[48:49]
	v_mul_f64_e32 v[54:55], s[24:25], v[10:11]
	v_fma_f64 v[56:57], v[28:29], s[14:15], -v[54:55]
	s_delay_alu instid0(VALU_DEP_1) | instskip(SKIP_1) | instid1(VALU_DEP_1)
	v_add_f64_e32 v[20:21], v[56:57], v[20:21]
	v_mul_f64_e32 v[56:57], s[26:27], v[10:11]
	v_fma_f64 v[96:97], v[28:29], s[2:3], -v[56:57]
	;; [unrolled: 4-line block ×6, first 2 shown]
	s_delay_alu instid0(VALU_DEP_1)
	v_add_f64_e32 v[48:49], v[190:191], v[48:49]
	v_mul_f64_e32 v[190:191], s[28:29], v[22:23]
	v_mul_f64_e32 v[22:23], s[36:37], v[22:23]
	ds_store_2addr_b64 v69, v[20:21], v[48:49] offset0:14 offset1:21
	v_mul_f64_e32 v[20:21], s[12:13], v[6:7]
	v_fma_f64 v[192:193], v[24:25], s[18:19], -v[190:191]
	v_mul_f64_e32 v[6:7], s[22:23], v[6:7]
	v_fma_f64 v[194:195], v[24:25], s[30:31], -v[22:23]
	v_fma_f64 v[22:23], v[24:25], s[30:31], v[22:23]
	v_fma_f64 v[48:49], v[16:17], s[6:7], -v[20:21]
	v_fma_f64 v[20:21], v[16:17], s[6:7], v[20:21]
	s_delay_alu instid0(VALU_DEP_2) | instskip(NEXT) | instid1(VALU_DEP_2)
	v_add_f64_e32 v[48:49], v[224:225], v[48:49]
	v_add_f64_e32 v[20:21], v[224:225], v[20:21]
	s_delay_alu instid0(VALU_DEP_2) | instskip(SKIP_2) | instid1(VALU_DEP_2)
	v_add_f64_e32 v[48:49], v[192:193], v[48:49]
	v_fma_f64 v[192:193], v[16:17], s[14:15], -v[6:7]
	v_fma_f64 v[6:7], v[16:17], s[14:15], v[6:7]
	v_add_f64_e32 v[192:193], v[224:225], v[192:193]
	s_delay_alu instid0(VALU_DEP_2) | instskip(NEXT) | instid1(VALU_DEP_2)
	v_add_f64_e32 v[6:7], v[224:225], v[6:7]
	v_add_f64_e32 v[192:193], v[194:195], v[192:193]
	v_mul_f64_e32 v[194:195], s[34:35], v[10:11]
	v_mul_f64_e32 v[10:11], s[12:13], v[10:11]
	s_delay_alu instid0(VALU_DEP_4) | instskip(NEXT) | instid1(VALU_DEP_3)
	v_add_f64_e32 v[6:7], v[22:23], v[6:7]
	v_fma_f64 v[230:231], v[28:29], s[30:31], -v[194:195]
	v_fma_f64 v[22:23], v[28:29], s[30:31], v[194:195]
	s_delay_alu instid0(VALU_DEP_2) | instskip(SKIP_2) | instid1(VALU_DEP_2)
	v_add_f64_e32 v[48:49], v[230:231], v[48:49]
	v_fma_f64 v[230:231], v[28:29], s[6:7], -v[10:11]
	v_fma_f64 v[10:11], v[28:29], s[6:7], v[10:11]
	v_add_f64_e32 v[192:193], v[230:231], v[192:193]
	v_mul_f64_e32 v[230:231], s[22:23], v[12:13]
	v_mul_f64_e32 v[12:13], s[26:27], v[12:13]
	s_delay_alu instid0(VALU_DEP_4) | instskip(NEXT) | instid1(VALU_DEP_3)
	v_add_f64_e32 v[6:7], v[10:11], v[6:7]
	v_fma_f64 v[232:233], v[32:33], s[14:15], -v[230:231]
	v_fma_f64 v[10:11], v[32:33], s[14:15], v[230:231]
	s_delay_alu instid0(VALU_DEP_2) | instskip(SKIP_2) | instid1(VALU_DEP_2)
	v_add_f64_e32 v[48:49], v[232:233], v[48:49]
	v_fma_f64 v[232:233], v[32:33], s[2:3], -v[12:13]
	v_fma_f64 v[12:13], v[32:33], s[2:3], v[12:13]
	v_add_f64_e32 v[192:193], v[232:233], v[192:193]
	v_mul_f64_e32 v[232:233], s[26:27], v[14:15]
	v_mul_f64_e32 v[14:15], s[20:21], v[14:15]
	s_delay_alu instid0(VALU_DEP_4) | instskip(NEXT) | instid1(VALU_DEP_3)
	v_add_f64_e32 v[6:7], v[12:13], v[6:7]
	v_fma_f64 v[234:235], v[38:39], s[2:3], -v[232:233]
	v_fma_f64 v[12:13], v[38:39], s[2:3], v[232:233]
	s_delay_alu instid0(VALU_DEP_2) | instskip(SKIP_1) | instid1(VALU_DEP_1)
	v_add_f64_e32 v[48:49], v[234:235], v[48:49]
	v_fma_f64 v[234:235], v[38:39], s[18:19], -v[14:15]
	v_add_f64_e32 v[192:193], v[234:235], v[192:193]
	ds_store_2addr_b64 v69, v[48:49], v[192:193] offset0:28 offset1:35
	v_fma_f64 v[48:49], v[24:25], s[18:19], v[190:191]
	s_delay_alu instid0(VALU_DEP_1) | instskip(NEXT) | instid1(VALU_DEP_1)
	v_add_f64_e32 v[20:21], v[48:49], v[20:21]
	v_add_f64_e32 v[20:21], v[22:23], v[20:21]
	v_add_f64_e64 v[22:23], v[128:129], -v[114:115]
	s_delay_alu instid0(VALU_DEP_2) | instskip(NEXT) | instid1(VALU_DEP_1)
	v_add_f64_e32 v[10:11], v[10:11], v[20:21]
	v_add_f64_e32 v[10:11], v[12:13], v[10:11]
	v_fma_f64 v[12:13], v[38:39], s[18:19], v[14:15]
	v_fma_f64 v[14:15], v[38:39], s[14:15], v[40:41]
	s_delay_alu instid0(VALU_DEP_2)
	v_add_f64_e32 v[6:7], v[12:13], v[6:7]
	v_fma_f64 v[12:13], v[32:33], s[6:7], v[34:35]
	ds_store_2addr_b64 v69, v[6:7], v[10:11] offset0:42 offset1:49
	v_fma_f64 v[6:7], v[24:25], s[6:7], v[42:43]
	v_fma_f64 v[10:11], v[24:25], s[14:15], v[50:51]
	v_mul_f64_e32 v[50:51], s[24:25], v[22:23]
	s_delay_alu instid0(VALU_DEP_3) | instskip(SKIP_1) | instid1(VALU_DEP_1)
	v_add_f64_e32 v[4:5], v[6:7], v[4:5]
	v_fma_f64 v[6:7], v[16:17], s[18:19], v[46:47]
	v_add_f64_e32 v[6:7], v[224:225], v[6:7]
	s_delay_alu instid0(VALU_DEP_1) | instskip(SKIP_1) | instid1(VALU_DEP_1)
	v_add_f64_e32 v[6:7], v[10:11], v[6:7]
	v_fma_f64 v[10:11], v[28:29], s[14:15], v[54:55]
	v_add_f64_e32 v[4:5], v[10:11], v[4:5]
	v_fma_f64 v[10:11], v[28:29], s[2:3], v[56:57]
	s_delay_alu instid0(VALU_DEP_1) | instskip(SKIP_1) | instid1(VALU_DEP_1)
	v_add_f64_e32 v[6:7], v[10:11], v[6:7]
	v_fma_f64 v[10:11], v[32:33], s[18:19], v[96:97]
	v_add_f64_e32 v[4:5], v[10:11], v[4:5]
	v_fma_f64 v[10:11], v[32:33], s[30:31], v[98:99]
	;; [unrolled: 5-line block ×3, first 2 shown]
	s_delay_alu instid0(VALU_DEP_1)
	v_add_f64_e32 v[6:7], v[10:11], v[6:7]
	v_fma_f64 v[10:11], v[28:29], s[18:19], v[30:31]
	ds_store_2addr_b64 v69, v[6:7], v[4:5] offset0:56 offset1:63
	v_fma_f64 v[4:5], v[16:17], s[30:31], v[18:19]
	v_fma_f64 v[6:7], v[24:25], s[2:3], v[26:27]
	v_add_f64_e32 v[16:17], v[140:141], v[60:61]
	v_add_f64_e32 v[24:25], v[138:139], v[144:145]
	v_mul_f64_e32 v[26:27], s[16:17], v[22:23]
	v_add_f64_e32 v[4:5], v[224:225], v[4:5]
	s_delay_alu instid0(VALU_DEP_3) | instskip(NEXT) | instid1(VALU_DEP_3)
	v_fma_f64 v[54:55], v[24:25], s[14:15], -v[50:51]
	v_fma_f64 v[28:29], v[24:25], s[2:3], -v[26:27]
	s_delay_alu instid0(VALU_DEP_3) | instskip(SKIP_1) | instid1(VALU_DEP_2)
	v_add_f64_e32 v[4:5], v[6:7], v[4:5]
	v_add_f64_e64 v[6:7], v[136:137], -v[90:91]
	v_add_f64_e32 v[4:5], v[10:11], v[4:5]
	s_delay_alu instid0(VALU_DEP_2) | instskip(SKIP_1) | instid1(VALU_DEP_3)
	v_mul_f64_e32 v[18:19], s[34:35], v[6:7]
	v_add_f64_e64 v[10:11], v[130:131], -v[110:111]
	v_add_f64_e32 v[4:5], v[12:13], v[4:5]
	s_delay_alu instid0(VALU_DEP_3) | instskip(NEXT) | instid1(VALU_DEP_3)
	v_fma_f64 v[20:21], v[16:17], s[30:31], -v[18:19]
	v_mul_f64_e32 v[30:31], s[20:21], v[10:11]
	v_add_f64_e64 v[12:13], v[124:125], -v[112:113]
	s_delay_alu instid0(VALU_DEP_4) | instskip(NEXT) | instid1(VALU_DEP_4)
	v_add_f64_e32 v[4:5], v[14:15], v[4:5]
	v_add_f64_e32 v[20:21], v[222:223], v[20:21]
	v_add_f64_e64 v[14:15], v[120:121], -v[116:117]
	s_delay_alu instid0(VALU_DEP_4)
	v_mul_f64_e32 v[34:35], s[12:13], v[12:13]
	ds_store_b64 v69, v[4:5] offset:560
	v_and_b32_e32 v4, 0xffff, v71
	v_lshlrev_b32_e32 v5, 3, v70
	v_add_f64_e32 v[20:21], v[28:29], v[20:21]
	v_add_f64_e32 v[28:29], v[132:133], v[142:143]
	v_mul_f64_e32 v[40:41], s[22:23], v[14:15]
	v_mul_u32_u24_e32 v4, 0x268, v4
	s_delay_alu instid0(VALU_DEP_1) | instskip(SKIP_2) | instid1(VALU_DEP_2)
	v_add3_u32 v70, 0, v4, v5
	v_add_f64_e32 v[4:5], v[222:223], v[140:141]
	v_fma_f64 v[32:33], v[28:29], s[18:19], -v[30:31]
	v_add_f64_e32 v[4:5], v[4:5], v[138:139]
	s_delay_alu instid0(VALU_DEP_2) | instskip(SKIP_1) | instid1(VALU_DEP_3)
	v_add_f64_e32 v[20:21], v[32:33], v[20:21]
	v_add_f64_e32 v[32:33], v[126:127], v[122:123]
	;; [unrolled: 1-line block ×3, first 2 shown]
	s_delay_alu instid0(VALU_DEP_2) | instskip(NEXT) | instid1(VALU_DEP_2)
	v_fma_f64 v[38:39], v[32:33], s[6:7], -v[34:35]
	v_add_f64_e32 v[4:5], v[4:5], v[126:127]
	s_delay_alu instid0(VALU_DEP_2) | instskip(SKIP_1) | instid1(VALU_DEP_3)
	v_add_f64_e32 v[20:21], v[38:39], v[20:21]
	v_add_f64_e32 v[38:39], v[134:135], v[118:119]
	v_add_f64_e32 v[4:5], v[4:5], v[134:135]
	s_delay_alu instid0(VALU_DEP_2) | instskip(NEXT) | instid1(VALU_DEP_2)
	v_fma_f64 v[42:43], v[38:39], s[14:15], -v[40:41]
	v_add_f64_e32 v[4:5], v[4:5], v[118:119]
	s_delay_alu instid0(VALU_DEP_2) | instskip(SKIP_1) | instid1(VALU_DEP_3)
	v_add_f64_e32 v[20:21], v[42:43], v[20:21]
	v_mul_f64_e32 v[42:43], s[12:13], v[22:23]
	v_add_f64_e32 v[4:5], v[4:5], v[122:123]
	s_delay_alu instid0(VALU_DEP_2) | instskip(NEXT) | instid1(VALU_DEP_2)
	v_fma_f64 v[46:47], v[24:25], s[6:7], -v[42:43]
	v_add_f64_e32 v[4:5], v[4:5], v[142:143]
	s_delay_alu instid0(VALU_DEP_1) | instskip(NEXT) | instid1(VALU_DEP_1)
	v_add_f64_e32 v[4:5], v[4:5], v[144:145]
	v_add_f64_e32 v[4:5], v[4:5], v[60:61]
	ds_store_2addr_b64 v70, v[4:5], v[20:21] offset1:7
	v_mul_f64_e32 v[4:5], s[16:17], v[6:7]
	s_delay_alu instid0(VALU_DEP_1) | instskip(SKIP_1) | instid1(VALU_DEP_2)
	v_fma_f64 v[20:21], v[16:17], s[2:3], -v[4:5]
	v_fma_f64 v[4:5], v[16:17], s[2:3], v[4:5]
	v_add_f64_e32 v[20:21], v[222:223], v[20:21]
	s_delay_alu instid0(VALU_DEP_2) | instskip(NEXT) | instid1(VALU_DEP_2)
	v_add_f64_e32 v[4:5], v[222:223], v[4:5]
	v_add_f64_e32 v[20:21], v[46:47], v[20:21]
	v_mul_f64_e32 v[46:47], s[20:21], v[6:7]
	s_delay_alu instid0(VALU_DEP_1) | instskip(NEXT) | instid1(VALU_DEP_1)
	v_fma_f64 v[48:49], v[16:17], s[18:19], -v[46:47]
	v_add_f64_e32 v[48:49], v[222:223], v[48:49]
	s_delay_alu instid0(VALU_DEP_1) | instskip(SKIP_1) | instid1(VALU_DEP_1)
	v_add_f64_e32 v[48:49], v[54:55], v[48:49]
	v_mul_f64_e32 v[54:55], s[24:25], v[10:11]
	v_fma_f64 v[56:57], v[28:29], s[14:15], -v[54:55]
	s_delay_alu instid0(VALU_DEP_1) | instskip(SKIP_1) | instid1(VALU_DEP_1)
	v_add_f64_e32 v[20:21], v[56:57], v[20:21]
	v_mul_f64_e32 v[56:57], s[26:27], v[10:11]
	v_fma_f64 v[96:97], v[28:29], s[2:3], -v[56:57]
	;; [unrolled: 4-line block ×6, first 2 shown]
	s_delay_alu instid0(VALU_DEP_1)
	v_add_f64_e32 v[48:49], v[190:191], v[48:49]
	v_mul_f64_e32 v[190:191], s[28:29], v[22:23]
	v_mul_f64_e32 v[22:23], s[36:37], v[22:23]
	ds_store_2addr_b64 v70, v[20:21], v[48:49] offset0:14 offset1:21
	v_mul_f64_e32 v[20:21], s[12:13], v[6:7]
	v_fma_f64 v[192:193], v[24:25], s[18:19], -v[190:191]
	v_mul_f64_e32 v[6:7], s[22:23], v[6:7]
	v_fma_f64 v[194:195], v[24:25], s[30:31], -v[22:23]
	v_fma_f64 v[22:23], v[24:25], s[30:31], v[22:23]
	v_fma_f64 v[48:49], v[16:17], s[6:7], -v[20:21]
	v_fma_f64 v[20:21], v[16:17], s[6:7], v[20:21]
	s_delay_alu instid0(VALU_DEP_2) | instskip(NEXT) | instid1(VALU_DEP_2)
	v_add_f64_e32 v[48:49], v[222:223], v[48:49]
	v_add_f64_e32 v[20:21], v[222:223], v[20:21]
	s_delay_alu instid0(VALU_DEP_2) | instskip(SKIP_2) | instid1(VALU_DEP_2)
	v_add_f64_e32 v[48:49], v[192:193], v[48:49]
	v_fma_f64 v[192:193], v[16:17], s[14:15], -v[6:7]
	v_fma_f64 v[6:7], v[16:17], s[14:15], v[6:7]
	v_add_f64_e32 v[192:193], v[222:223], v[192:193]
	s_delay_alu instid0(VALU_DEP_2) | instskip(NEXT) | instid1(VALU_DEP_2)
	v_add_f64_e32 v[6:7], v[222:223], v[6:7]
	v_add_f64_e32 v[192:193], v[194:195], v[192:193]
	v_mul_f64_e32 v[194:195], s[34:35], v[10:11]
	v_mul_f64_e32 v[10:11], s[12:13], v[10:11]
	s_delay_alu instid0(VALU_DEP_4) | instskip(NEXT) | instid1(VALU_DEP_3)
	v_add_f64_e32 v[6:7], v[22:23], v[6:7]
	v_fma_f64 v[224:225], v[28:29], s[30:31], -v[194:195]
	v_fma_f64 v[22:23], v[28:29], s[30:31], v[194:195]
	v_lshlrev_b32_e32 v195, 3, v59
	s_delay_alu instid0(VALU_DEP_3) | instskip(SKIP_2) | instid1(VALU_DEP_2)
	v_add_f64_e32 v[48:49], v[224:225], v[48:49]
	v_fma_f64 v[224:225], v[28:29], s[6:7], -v[10:11]
	v_fma_f64 v[10:11], v[28:29], s[6:7], v[10:11]
	v_add_f64_e32 v[192:193], v[224:225], v[192:193]
	v_mul_f64_e32 v[224:225], s[22:23], v[12:13]
	v_mul_f64_e32 v[12:13], s[26:27], v[12:13]
	s_delay_alu instid0(VALU_DEP_4) | instskip(NEXT) | instid1(VALU_DEP_3)
	v_add_f64_e32 v[6:7], v[10:11], v[6:7]
	v_fma_f64 v[230:231], v[32:33], s[14:15], -v[224:225]
	v_fma_f64 v[10:11], v[32:33], s[14:15], v[224:225]
	s_delay_alu instid0(VALU_DEP_2) | instskip(SKIP_2) | instid1(VALU_DEP_2)
	v_add_f64_e32 v[48:49], v[230:231], v[48:49]
	v_fma_f64 v[230:231], v[32:33], s[2:3], -v[12:13]
	v_fma_f64 v[12:13], v[32:33], s[2:3], v[12:13]
	v_add_f64_e32 v[192:193], v[230:231], v[192:193]
	v_mul_f64_e32 v[230:231], s[26:27], v[14:15]
	v_mul_f64_e32 v[14:15], s[20:21], v[14:15]
	s_delay_alu instid0(VALU_DEP_4) | instskip(NEXT) | instid1(VALU_DEP_3)
	v_add_f64_e32 v[6:7], v[12:13], v[6:7]
	v_fma_f64 v[232:233], v[38:39], s[2:3], -v[230:231]
	v_fma_f64 v[12:13], v[38:39], s[2:3], v[230:231]
	s_delay_alu instid0(VALU_DEP_2) | instskip(SKIP_1) | instid1(VALU_DEP_1)
	v_add_f64_e32 v[48:49], v[232:233], v[48:49]
	v_fma_f64 v[232:233], v[38:39], s[18:19], -v[14:15]
	v_add_f64_e32 v[192:193], v[232:233], v[192:193]
	ds_store_2addr_b64 v70, v[48:49], v[192:193] offset0:28 offset1:35
	v_fma_f64 v[48:49], v[24:25], s[18:19], v[190:191]
	s_delay_alu instid0(VALU_DEP_1) | instskip(NEXT) | instid1(VALU_DEP_1)
	v_add_f64_e32 v[20:21], v[48:49], v[20:21]
	v_add_f64_e32 v[20:21], v[22:23], v[20:21]
	s_delay_alu instid0(VALU_DEP_1) | instskip(NEXT) | instid1(VALU_DEP_1)
	v_add_f64_e32 v[10:11], v[10:11], v[20:21]
	v_add_f64_e32 v[10:11], v[12:13], v[10:11]
	v_fma_f64 v[12:13], v[38:39], s[18:19], v[14:15]
	s_delay_alu instid0(VALU_DEP_1) | instskip(SKIP_3) | instid1(VALU_DEP_2)
	v_add_f64_e32 v[6:7], v[12:13], v[6:7]
	ds_store_2addr_b64 v70, v[6:7], v[10:11] offset0:42 offset1:49
	v_fma_f64 v[6:7], v[24:25], s[6:7], v[42:43]
	v_fma_f64 v[10:11], v[24:25], s[14:15], v[50:51]
	v_add_f64_e32 v[4:5], v[6:7], v[4:5]
	v_fma_f64 v[6:7], v[16:17], s[18:19], v[46:47]
	s_delay_alu instid0(VALU_DEP_1) | instskip(NEXT) | instid1(VALU_DEP_1)
	v_add_f64_e32 v[6:7], v[222:223], v[6:7]
	v_add_f64_e32 v[6:7], v[10:11], v[6:7]
	v_fma_f64 v[10:11], v[28:29], s[14:15], v[54:55]
	s_delay_alu instid0(VALU_DEP_1) | instskip(SKIP_1) | instid1(VALU_DEP_1)
	v_add_f64_e32 v[4:5], v[10:11], v[4:5]
	v_fma_f64 v[10:11], v[28:29], s[2:3], v[56:57]
	v_add_f64_e32 v[6:7], v[10:11], v[6:7]
	v_fma_f64 v[10:11], v[32:33], s[18:19], v[96:97]
	v_and_b32_e32 v96, 0xffff, v58
	s_delay_alu instid0(VALU_DEP_2) | instskip(SKIP_1) | instid1(VALU_DEP_1)
	v_add_f64_e32 v[4:5], v[10:11], v[4:5]
	v_fma_f64 v[10:11], v[32:33], s[30:31], v[98:99]
	v_add_f64_e32 v[6:7], v[10:11], v[6:7]
	v_fma_f64 v[10:11], v[38:39], s[30:31], v[100:101]
	s_delay_alu instid0(VALU_DEP_1) | instskip(SKIP_1) | instid1(VALU_DEP_1)
	v_add_f64_e32 v[4:5], v[10:11], v[4:5]
	v_fma_f64 v[10:11], v[38:39], s[6:7], v[102:103]
	v_add_f64_e32 v[6:7], v[10:11], v[6:7]
	v_fma_f64 v[10:11], v[28:29], s[18:19], v[30:31]
	ds_store_2addr_b64 v70, v[6:7], v[4:5] offset0:56 offset1:63
	v_fma_f64 v[4:5], v[16:17], s[30:31], v[18:19]
	v_fma_f64 v[6:7], v[24:25], s[2:3], v[26:27]
	s_delay_alu instid0(VALU_DEP_2) | instskip(NEXT) | instid1(VALU_DEP_1)
	v_add_f64_e32 v[4:5], v[222:223], v[4:5]
	v_add_f64_e32 v[4:5], v[6:7], v[4:5]
	v_fma_f64 v[6:7], v[32:33], s[6:7], v[34:35]
	s_delay_alu instid0(VALU_DEP_2) | instskip(SKIP_1) | instid1(VALU_DEP_2)
	v_add_f64_e32 v[4:5], v[10:11], v[4:5]
	v_fma_f64 v[10:11], v[38:39], s[14:15], v[40:41]
	v_add_f64_e32 v[4:5], v[6:7], v[4:5]
	s_delay_alu instid0(VALU_DEP_1)
	v_add_f64_e32 v[4:5], v[10:11], v[4:5]
	ds_store_b64 v70, v[4:5] offset:560
	s_and_saveexec_b32 s1, s0
	s_cbranch_execz .LBB0_19
; %bb.18:
	s_clause 0x7
	scratch_load_b64 v[4:5], off, off offset:16
	scratch_load_b64 v[6:7], off, off offset:168
	;; [unrolled: 1-line block ×8, first 2 shown]
	s_wait_loadcnt 0x6
	v_add_f64_e64 v[4:5], v[6:7], -v[4:5]
	s_wait_loadcnt 0x4
	v_add_f64_e32 v[6:7], v[88:89], v[92:93]
	s_wait_loadcnt 0x2
	v_add_f64_e64 v[14:15], v[16:17], -v[14:15]
	s_wait_loadcnt 0x0
	v_add_f64_e32 v[16:17], v[84:85], v[86:87]
	s_delay_alu instid0(VALU_DEP_4) | instskip(NEXT) | instid1(VALU_DEP_3)
	v_mul_f64_e32 v[10:11], s[20:21], v[4:5]
	v_mul_f64_e32 v[18:19], s[24:25], v[14:15]
	;; [unrolled: 1-line block ×4, first 2 shown]
	s_delay_alu instid0(VALU_DEP_4)
	v_fma_f64 v[12:13], v[6:7], s[18:19], -v[10:11]
	v_fma_f64 v[10:11], v[6:7], s[18:19], v[10:11]
	v_fma_f64 v[20:21], v[16:17], s[14:15], -v[18:19]
	v_fma_f64 v[26:27], v[16:17], s[6:7], -v[24:25]
	;; [unrolled: 1-line block ×3, first 2 shown]
	v_add_f64_e32 v[12:13], v[220:221], v[12:13]
	v_add_f64_e32 v[10:11], v[220:221], v[10:11]
	s_delay_alu instid0(VALU_DEP_2) | instskip(SKIP_1) | instid1(VALU_DEP_1)
	v_add_f64_e32 v[12:13], v[20:21], v[12:13]
	v_mul_f64_e32 v[20:21], s[16:17], v[4:5]
	v_fma_f64 v[22:23], v[6:7], s[2:3], -v[20:21]
	s_delay_alu instid0(VALU_DEP_1) | instskip(NEXT) | instid1(VALU_DEP_1)
	v_add_f64_e32 v[22:23], v[220:221], v[22:23]
	v_add_f64_e32 v[22:23], v[26:27], v[22:23]
	s_clause 0x3
	scratch_load_b64 v[26:27], off, off offset:40
	scratch_load_b64 v[28:29], off, off offset:112
	;; [unrolled: 1-line block ×4, first 2 shown]
	s_wait_loadcnt 0x2
	v_add_f64_e64 v[26:27], v[28:29], -v[26:27]
	s_wait_loadcnt 0x0
	v_add_f64_e32 v[28:29], v[80:81], v[82:83]
	s_delay_alu instid0(VALU_DEP_2) | instskip(NEXT) | instid1(VALU_DEP_1)
	v_mul_f64_e32 v[30:31], s[26:27], v[26:27]
	v_fma_f64 v[32:33], v[28:29], s[2:3], -v[30:31]
	s_delay_alu instid0(VALU_DEP_1) | instskip(SKIP_1) | instid1(VALU_DEP_1)
	v_add_f64_e32 v[12:13], v[32:33], v[12:13]
	v_mul_f64_e32 v[32:33], s[24:25], v[26:27]
	v_fma_f64 v[34:35], v[28:29], s[14:15], -v[32:33]
	s_delay_alu instid0(VALU_DEP_1)
	v_add_f64_e32 v[22:23], v[34:35], v[22:23]
	s_clause 0x3
	scratch_load_b64 v[34:35], off, off offset:64
	scratch_load_b64 v[38:39], off, off offset:88
	;; [unrolled: 1-line block ×4, first 2 shown]
	s_wait_loadcnt 0x2
	v_add_f64_e64 v[34:35], v[38:39], -v[34:35]
	s_wait_loadcnt 0x0
	v_add_f64_e32 v[38:39], v[76:77], v[78:79]
	s_delay_alu instid0(VALU_DEP_2) | instskip(NEXT) | instid1(VALU_DEP_1)
	v_mul_f64_e32 v[40:41], s[34:35], v[34:35]
	v_fma_f64 v[42:43], v[38:39], s[30:31], -v[40:41]
	s_delay_alu instid0(VALU_DEP_1) | instskip(SKIP_1) | instid1(VALU_DEP_1)
	v_add_f64_e32 v[12:13], v[42:43], v[12:13]
	v_mul_f64_e32 v[42:43], s[28:29], v[34:35]
	v_fma_f64 v[46:47], v[38:39], s[18:19], -v[42:43]
	s_delay_alu instid0(VALU_DEP_1)
	v_add_f64_e32 v[22:23], v[46:47], v[22:23]
	s_clause 0x3
	scratch_load_b64 v[46:47], off, off offset:48
	scratch_load_b64 v[48:49], off, off offset:56
	;; [unrolled: 1-line block ×4, first 2 shown]
	s_wait_loadcnt 0x2
	v_add_f64_e64 v[46:47], v[46:47], -v[48:49]
	s_wait_loadcnt 0x0
	v_add_f64_e32 v[48:49], v[72:73], v[74:75]
	s_delay_alu instid0(VALU_DEP_2) | instskip(NEXT) | instid1(VALU_DEP_1)
	v_mul_f64_e32 v[50:51], s[12:13], v[46:47]
	v_fma_f64 v[54:55], v[48:49], s[6:7], -v[50:51]
	s_delay_alu instid0(VALU_DEP_1) | instskip(SKIP_1) | instid1(VALU_DEP_1)
	v_add_f64_e32 v[12:13], v[54:55], v[12:13]
	v_mul_f64_e32 v[54:55], s[36:37], v[46:47]
	v_fma_f64 v[56:57], v[48:49], s[30:31], -v[54:55]
	s_delay_alu instid0(VALU_DEP_1) | instskip(SKIP_1) | instid1(VALU_DEP_1)
	v_add_f64_e32 v[22:23], v[56:57], v[22:23]
	v_mul_u32_u24_e32 v56, 0x268, v96
	v_add3_u32 v71, 0, v56, v195
	v_mul_f64_e32 v[56:57], s[36:37], v[14:15]
	ds_store_2addr_b64 v71, v[22:23], v[12:13] offset0:14 offset1:21
	v_mul_f64_e32 v[12:13], s[22:23], v[4:5]
	v_fma_f64 v[58:59], v[16:17], s[30:31], -v[56:57]
	s_delay_alu instid0(VALU_DEP_2) | instskip(SKIP_1) | instid1(VALU_DEP_2)
	v_fma_f64 v[22:23], v[6:7], s[14:15], -v[12:13]
	v_fma_f64 v[12:13], v[6:7], s[14:15], v[12:13]
	v_add_f64_e32 v[22:23], v[220:221], v[22:23]
	s_delay_alu instid0(VALU_DEP_2) | instskip(NEXT) | instid1(VALU_DEP_2)
	v_add_f64_e32 v[12:13], v[220:221], v[12:13]
	v_add_f64_e32 v[22:23], v[58:59], v[22:23]
	v_mul_f64_e32 v[58:59], s[12:13], v[4:5]
	v_mul_f64_e32 v[4:5], s[34:35], v[4:5]
	s_delay_alu instid0(VALU_DEP_2) | instskip(NEXT) | instid1(VALU_DEP_1)
	v_fma_f64 v[97:98], v[6:7], s[6:7], -v[58:59]
	v_add_f64_e32 v[97:98], v[220:221], v[97:98]
	s_delay_alu instid0(VALU_DEP_1) | instskip(SKIP_1) | instid1(VALU_DEP_1)
	v_add_f64_e32 v[97:98], v[101:102], v[97:98]
	v_mul_f64_e32 v[101:102], s[12:13], v[26:27]
	v_fma_f64 v[190:191], v[28:29], s[6:7], -v[101:102]
	s_delay_alu instid0(VALU_DEP_1) | instskip(SKIP_1) | instid1(VALU_DEP_1)
	v_add_f64_e32 v[22:23], v[190:191], v[22:23]
	v_mul_f64_e32 v[190:191], s[34:35], v[26:27]
	v_fma_f64 v[192:193], v[28:29], s[30:31], -v[190:191]
	;; [unrolled: 4-line block ×6, first 2 shown]
	s_delay_alu instid0(VALU_DEP_1) | instskip(SKIP_3) | instid1(VALU_DEP_2)
	v_add_f64_e32 v[97:98], v[232:233], v[97:98]
	ds_store_2addr_b64 v71, v[97:98], v[22:23] offset0:28 offset1:35
	v_fma_f64 v[22:23], v[16:17], s[30:31], v[56:57]
	v_fma_f64 v[56:57], v[16:17], s[18:19], v[99:100]
	v_add_f64_e32 v[12:13], v[22:23], v[12:13]
	v_fma_f64 v[22:23], v[6:7], s[6:7], v[58:59]
	s_delay_alu instid0(VALU_DEP_1) | instskip(NEXT) | instid1(VALU_DEP_1)
	v_add_f64_e32 v[22:23], v[220:221], v[22:23]
	v_add_f64_e32 v[22:23], v[56:57], v[22:23]
	v_fma_f64 v[56:57], v[28:29], s[6:7], v[101:102]
	s_delay_alu instid0(VALU_DEP_1) | instskip(SKIP_1) | instid1(VALU_DEP_1)
	v_add_f64_e32 v[12:13], v[56:57], v[12:13]
	v_fma_f64 v[56:57], v[28:29], s[30:31], v[190:191]
	v_add_f64_e32 v[22:23], v[56:57], v[22:23]
	v_fma_f64 v[56:57], v[38:39], s[2:3], v[192:193]
	s_delay_alu instid0(VALU_DEP_1) | instskip(SKIP_1) | instid1(VALU_DEP_1)
	v_add_f64_e32 v[12:13], v[56:57], v[12:13]
	v_fma_f64 v[56:57], v[38:39], s[14:15], v[222:223]
	;; [unrolled: 5-line block ×3, first 2 shown]
	v_add_f64_e32 v[22:23], v[56:57], v[22:23]
	ds_store_2addr_b64 v71, v[12:13], v[22:23] offset0:42 offset1:49
	v_fma_f64 v[12:13], v[16:17], s[14:15], v[18:19]
	v_fma_f64 v[18:19], v[16:17], s[6:7], v[24:25]
	s_delay_alu instid0(VALU_DEP_2) | instskip(SKIP_1) | instid1(VALU_DEP_1)
	v_add_f64_e32 v[10:11], v[12:13], v[10:11]
	v_fma_f64 v[12:13], v[6:7], s[2:3], v[20:21]
	v_add_f64_e32 v[12:13], v[220:221], v[12:13]
	s_delay_alu instid0(VALU_DEP_1) | instskip(SKIP_1) | instid1(VALU_DEP_1)
	v_add_f64_e32 v[12:13], v[18:19], v[12:13]
	v_fma_f64 v[18:19], v[28:29], s[2:3], v[30:31]
	v_add_f64_e32 v[10:11], v[18:19], v[10:11]
	v_fma_f64 v[18:19], v[28:29], s[14:15], v[32:33]
	s_delay_alu instid0(VALU_DEP_1) | instskip(SKIP_1) | instid1(VALU_DEP_1)
	v_add_f64_e32 v[12:13], v[18:19], v[12:13]
	v_fma_f64 v[18:19], v[38:39], s[30:31], v[40:41]
	v_add_f64_e32 v[10:11], v[18:19], v[10:11]
	v_fma_f64 v[18:19], v[38:39], s[18:19], v[42:43]
	;; [unrolled: 5-line block ×3, first 2 shown]
	s_delay_alu instid0(VALU_DEP_1) | instskip(SKIP_4) | instid1(VALU_DEP_3)
	v_add_f64_e32 v[12:13], v[18:19], v[12:13]
	ds_store_2addr_b64 v71, v[10:11], v[12:13] offset0:56 offset1:63
	v_mul_f64_e32 v[10:11], s[16:17], v[14:15]
	v_fma_f64 v[12:13], v[6:7], s[30:31], -v[4:5]
	v_fma_f64 v[4:5], v[6:7], s[30:31], v[4:5]
	v_fma_f64 v[14:15], v[16:17], s[2:3], -v[10:11]
	s_delay_alu instid0(VALU_DEP_3) | instskip(SKIP_1) | instid1(VALU_DEP_4)
	v_add_f64_e32 v[12:13], v[220:221], v[12:13]
	v_fma_f64 v[6:7], v[16:17], s[2:3], v[10:11]
	v_add_f64_e32 v[4:5], v[220:221], v[4:5]
	s_delay_alu instid0(VALU_DEP_3) | instskip(SKIP_1) | instid1(VALU_DEP_3)
	v_add_f64_e32 v[12:13], v[14:15], v[12:13]
	v_mul_f64_e32 v[14:15], s[20:21], v[26:27]
	v_add_f64_e32 v[4:5], v[6:7], v[4:5]
	s_delay_alu instid0(VALU_DEP_2) | instskip(SKIP_1) | instid1(VALU_DEP_2)
	v_fma_f64 v[18:19], v[28:29], s[18:19], -v[14:15]
	v_fma_f64 v[10:11], v[28:29], s[18:19], v[14:15]
	v_add_f64_e32 v[12:13], v[18:19], v[12:13]
	v_mul_f64_e32 v[18:19], s[12:13], v[34:35]
	s_delay_alu instid0(VALU_DEP_3) | instskip(NEXT) | instid1(VALU_DEP_2)
	v_add_f64_e32 v[4:5], v[10:11], v[4:5]
	v_fma_f64 v[20:21], v[38:39], s[6:7], -v[18:19]
	v_fma_f64 v[6:7], v[38:39], s[6:7], v[18:19]
	s_delay_alu instid0(VALU_DEP_2) | instskip(SKIP_1) | instid1(VALU_DEP_3)
	v_add_f64_e32 v[12:13], v[20:21], v[12:13]
	v_mul_f64_e32 v[20:21], s[22:23], v[46:47]
	v_add_f64_e32 v[4:5], v[6:7], v[4:5]
	s_delay_alu instid0(VALU_DEP_2) | instskip(SKIP_1) | instid1(VALU_DEP_2)
	v_fma_f64 v[22:23], v[48:49], s[14:15], -v[20:21]
	v_fma_f64 v[10:11], v[48:49], s[14:15], v[20:21]
	v_add_f64_e32 v[12:13], v[22:23], v[12:13]
	v_add_f64_e32 v[22:23], v[220:221], v[88:89]
	s_delay_alu instid0(VALU_DEP_3) | instskip(NEXT) | instid1(VALU_DEP_2)
	v_add_f64_e32 v[4:5], v[10:11], v[4:5]
	v_add_f64_e32 v[22:23], v[22:23], v[84:85]
	ds_store_b64 v71, v[4:5] offset:560
	v_add_f64_e32 v[22:23], v[22:23], v[80:81]
	s_delay_alu instid0(VALU_DEP_1) | instskip(NEXT) | instid1(VALU_DEP_1)
	v_add_f64_e32 v[22:23], v[22:23], v[76:77]
	v_add_f64_e32 v[22:23], v[22:23], v[72:73]
	s_delay_alu instid0(VALU_DEP_1) | instskip(NEXT) | instid1(VALU_DEP_1)
	v_add_f64_e32 v[22:23], v[22:23], v[74:75]
	;; [unrolled: 3-line block ×3, first 2 shown]
	v_add_f64_e32 v[22:23], v[22:23], v[86:87]
	s_delay_alu instid0(VALU_DEP_1)
	v_add_f64_e32 v[22:23], v[22:23], v[92:93]
	ds_store_2addr_b64 v71, v[22:23], v[12:13] offset1:7
.LBB0_19:
	s_wait_alu 0xfffe
	s_or_b32 exec_lo, exec_lo, s1
	v_add_f64_e64 v[2:3], v[2:3], -v[228:229]
	v_add_f64_e32 v[14:15], v[8:9], v[184:185]
	v_add_f64_e64 v[230:231], v[210:211], -v[36:37]
	v_add_f64_e64 v[228:229], v[226:227], -v[216:217]
	;; [unrolled: 1-line block ×3, first 2 shown]
	v_add_f64_e32 v[214:215], v[162:163], v[208:209]
	v_add_f64_e32 v[220:221], v[0:1], v[8:9]
	;; [unrolled: 1-line block ×3, first 2 shown]
	v_add_f64_e64 v[226:227], v[212:213], -v[44:45]
	v_add_f64_e32 v[79:80], v[174:175], v[204:205]
	v_add_f64_e32 v[85:86], v[202:203], v[176:177]
	global_wb scope:SCOPE_SE
	s_wait_storecnt_dscnt 0x0
	s_barrier_signal -1
	s_barrier_wait -1
	global_inv scope:SCOPE_SE
	ds_load_b64 v[212:213], v254
	v_add_nc_u32_e32 v251, 0x800, v254
	v_add_nc_u32_e32 v218, 0x1400, v254
	;; [unrolled: 1-line block ×11, first 2 shown]
	v_add_f64_e64 v[64:65], v[64:65], -v[170:171]
	v_mul_f64_e32 v[4:5], s[34:35], v[2:3]
	v_mul_f64_e32 v[6:7], s[16:17], v[2:3]
	;; [unrolled: 1-line block ×13, first 2 shown]
	v_fma_f64 v[16:17], v[14:15], s[30:31], v[4:5]
	v_fma_f64 v[4:5], v[14:15], s[30:31], -v[4:5]
	v_fma_f64 v[18:19], v[14:15], s[2:3], v[6:7]
	v_fma_f64 v[6:7], v[14:15], s[2:3], -v[6:7]
	;; [unrolled: 2-line block ×5, first 2 shown]
	v_add_f64_e32 v[224:225], v[0:1], v[16:17]
	v_add_f64_e32 v[222:223], v[0:1], v[4:5]
	;; [unrolled: 1-line block ×10, first 2 shown]
	v_fma_f64 v[0:1], v[214:215], s[6:7], v[236:237]
	v_fma_f64 v[2:3], v[214:215], s[14:15], v[71:72]
	v_fma_f64 v[71:72], v[214:215], s[14:15], -v[71:72]
	s_delay_alu instid0(VALU_DEP_3) | instskip(SKIP_1) | instid1(VALU_DEP_4)
	v_add_f64_e32 v[0:1], v[0:1], v[4:5]
	v_fma_f64 v[4:5], v[73:74], s[14:15], v[75:76]
	v_add_f64_e32 v[2:3], v[2:3], v[6:7]
	s_delay_alu instid0(VALU_DEP_4) | instskip(SKIP_1) | instid1(VALU_DEP_4)
	v_add_f64_e32 v[71:72], v[71:72], v[234:235]
	v_fma_f64 v[75:76], v[73:74], s[14:15], -v[75:76]
	v_add_f64_e32 v[0:1], v[4:5], v[0:1]
	v_fma_f64 v[4:5], v[73:74], s[2:3], v[77:78]
	v_fma_f64 v[77:78], v[73:74], s[2:3], -v[77:78]
	s_delay_alu instid0(VALU_DEP_2) | instskip(SKIP_1) | instid1(VALU_DEP_3)
	v_add_f64_e32 v[2:3], v[4:5], v[2:3]
	v_fma_f64 v[4:5], v[79:80], s[18:19], v[81:82]
	v_add_f64_e32 v[71:72], v[77:78], v[71:72]
	v_fma_f64 v[77:78], v[79:80], s[18:19], -v[81:82]
	v_mul_f64_e32 v[81:82], s[20:21], v[228:229]
	s_delay_alu instid0(VALU_DEP_4) | instskip(SKIP_1) | instid1(VALU_DEP_1)
	v_add_f64_e32 v[0:1], v[4:5], v[0:1]
	v_fma_f64 v[4:5], v[79:80], s[30:31], v[83:84]
	v_add_f64_e32 v[2:3], v[4:5], v[2:3]
	v_fma_f64 v[4:5], v[85:86], s[30:31], v[92:93]
	s_delay_alu instid0(VALU_DEP_1) | instskip(SKIP_1) | instid1(VALU_DEP_1)
	v_add_f64_e32 v[104:105], v[4:5], v[0:1]
	v_fma_f64 v[0:1], v[85:86], s[6:7], v[94:95]
	v_add_f64_e32 v[106:107], v[0:1], v[2:3]
	v_lshl_add_u32 v0, v246, 3, 0
	v_lshl_add_u32 v1, v219, 3, 0
	s_delay_alu instid0(VALU_DEP_2)
	v_add_nc_u32_e32 v194, 0x800, v0
	v_lshl_add_u32 v0, v255, 3, 0
	ds_load_b64 v[100:101], v0
	scratch_load_b32 v0, off, off offset:4  ; 4-byte Folded Reload
	s_wait_loadcnt 0x0
	ds_load_b64 v[102:103], v0
	scratch_load_b32 v0, off, off           ; 4-byte Folded Reload
	s_wait_loadcnt 0x0
	ds_load_b64 v[210:211], v0
	ds_load_b64 v[98:99], v1
	ds_load_2addr_b64 v[56:59], v251 offset0:129 offset1:184
	ds_load_2addr_b64 v[32:35], v218 offset0:75 offset1:130
	;; [unrolled: 1-line block ×15, first 2 shown]
	global_wb scope:SCOPE_SE
	s_wait_dscnt 0x0
	s_barrier_signal -1
	s_barrier_wait -1
	global_inv scope:SCOPE_SE
	ds_store_2addr_b64 v68, v[104:105], v[106:107] offset0:14 offset1:21
	v_mul_f64_e32 v[104:105], s[28:29], v[230:231]
	s_delay_alu instid0(VALU_DEP_1) | instskip(NEXT) | instid1(VALU_DEP_1)
	v_fma_f64 v[106:107], v[214:215], s[18:19], v[104:105]
	v_add_f64_e32 v[106:107], v[106:107], v[244:245]
	v_mul_f64_e32 v[244:245], s[36:37], v[230:231]
	s_delay_alu instid0(VALU_DEP_1) | instskip(NEXT) | instid1(VALU_DEP_1)
	v_fma_f64 v[108:109], v[214:215], s[30:31], v[244:245]
	v_add_f64_e32 v[108:109], v[108:109], v[242:243]
	;; [unrolled: 4-line block ×3, first 2 shown]
	v_mul_f64_e32 v[106:107], s[12:13], v[228:229]
	s_delay_alu instid0(VALU_DEP_1) | instskip(SKIP_1) | instid1(VALU_DEP_2)
	v_fma_f64 v[136:137], v[73:74], s[6:7], v[106:107]
	v_fma_f64 v[106:107], v[73:74], s[6:7], -v[106:107]
	v_add_f64_e32 v[108:109], v[136:137], v[108:109]
	v_mul_f64_e32 v[136:137], s[22:23], v[226:227]
	s_delay_alu instid0(VALU_DEP_1) | instskip(NEXT) | instid1(VALU_DEP_1)
	v_fma_f64 v[128:129], v[79:80], s[14:15], v[136:137]
	v_add_f64_e32 v[87:88], v[128:129], v[87:88]
	v_mul_f64_e32 v[128:129], s[26:27], v[226:227]
	s_delay_alu instid0(VALU_DEP_1) | instskip(NEXT) | instid1(VALU_DEP_1)
	v_fma_f64 v[130:131], v[79:80], s[2:3], v[128:129]
	;; [unrolled: 4-line block ×4, first 2 shown]
	v_add_f64_e32 v[108:109], v[138:139], v[108:109]
	ds_store_2addr_b64 v68, v[87:88], v[108:109] offset0:28 offset1:35
	v_fma_f64 v[87:88], v[214:215], s[18:19], -v[104:105]
	v_fma_f64 v[104:105], v[214:215], s[30:31], -v[244:245]
	v_fma_f64 v[108:109], v[73:74], s[30:31], -v[242:243]
	s_delay_alu instid0(VALU_DEP_3) | instskip(NEXT) | instid1(VALU_DEP_3)
	v_add_f64_e32 v[87:88], v[87:88], v[238:239]
	v_add_f64_e32 v[104:105], v[104:105], v[240:241]
	s_delay_alu instid0(VALU_DEP_2) | instskip(NEXT) | instid1(VALU_DEP_2)
	v_add_f64_e32 v[87:88], v[108:109], v[87:88]
	v_add_f64_e32 v[104:105], v[106:107], v[104:105]
	v_fma_f64 v[106:107], v[79:80], s[14:15], -v[136:137]
	s_delay_alu instid0(VALU_DEP_1) | instskip(SKIP_1) | instid1(VALU_DEP_1)
	v_add_f64_e32 v[87:88], v[106:107], v[87:88]
	v_fma_f64 v[106:107], v[79:80], s[2:3], -v[128:129]
	v_add_f64_e32 v[104:105], v[106:107], v[104:105]
	v_fma_f64 v[106:107], v[85:86], s[2:3], -v[130:131]
	s_delay_alu instid0(VALU_DEP_1) | instskip(SKIP_1) | instid1(VALU_DEP_1)
	v_add_f64_e32 v[87:88], v[106:107], v[87:88]
	v_fma_f64 v[106:107], v[85:86], s[18:19], -v[140:141]
	v_add_f64_e32 v[104:105], v[106:107], v[104:105]
	ds_store_2addr_b64 v68, v[104:105], v[87:88] offset0:42 offset1:49
	v_fma_f64 v[87:88], v[214:215], s[6:7], -v[236:237]
	s_delay_alu instid0(VALU_DEP_1) | instskip(NEXT) | instid1(VALU_DEP_1)
	v_add_f64_e32 v[87:88], v[87:88], v[232:233]
	v_add_f64_e32 v[75:76], v[75:76], v[87:88]
	s_delay_alu instid0(VALU_DEP_1) | instskip(SKIP_4) | instid1(VALU_DEP_4)
	v_add_f64_e32 v[75:76], v[77:78], v[75:76]
	v_fma_f64 v[77:78], v[79:80], s[30:31], -v[83:84]
	v_fma_f64 v[83:84], v[73:74], s[18:19], v[81:82]
	v_fma_f64 v[73:74], v[73:74], s[18:19], -v[81:82]
	v_add_f64_e32 v[81:82], v[150:151], v[148:149]
	v_add_f64_e32 v[71:72], v[77:78], v[71:72]
	v_fma_f64 v[77:78], v[85:86], s[30:31], -v[92:93]
	s_delay_alu instid0(VALU_DEP_1) | instskip(SKIP_1) | instid1(VALU_DEP_1)
	v_add_f64_e32 v[75:76], v[77:78], v[75:76]
	v_fma_f64 v[77:78], v[85:86], s[6:7], -v[94:95]
	v_add_f64_e32 v[71:72], v[77:78], v[71:72]
	ds_store_2addr_b64 v68, v[71:72], v[75:76] offset0:56 offset1:63
	v_add_f64_e32 v[71:72], v[220:221], v[162:163]
	v_mul_f64_e32 v[75:76], s[16:17], v[230:231]
	s_delay_alu instid0(VALU_DEP_2) | instskip(NEXT) | instid1(VALU_DEP_2)
	v_add_f64_e32 v[71:72], v[71:72], v[196:197]
	v_fma_f64 v[77:78], v[214:215], s[2:3], v[75:76]
	s_delay_alu instid0(VALU_DEP_2) | instskip(NEXT) | instid1(VALU_DEP_2)
	v_add_f64_e32 v[71:72], v[71:72], v[174:175]
	v_add_f64_e32 v[77:78], v[77:78], v[224:225]
	s_delay_alu instid0(VALU_DEP_2) | instskip(NEXT) | instid1(VALU_DEP_2)
	v_add_f64_e32 v[71:72], v[71:72], v[202:203]
	v_add_f64_e32 v[77:78], v[83:84], v[77:78]
	v_mul_f64_e32 v[83:84], s[12:13], v[226:227]
	s_delay_alu instid0(VALU_DEP_3) | instskip(NEXT) | instid1(VALU_DEP_2)
	v_add_f64_e32 v[71:72], v[71:72], v[176:177]
	v_fma_f64 v[87:88], v[79:80], s[6:7], v[83:84]
	s_delay_alu instid0(VALU_DEP_2) | instskip(NEXT) | instid1(VALU_DEP_2)
	v_add_f64_e32 v[71:72], v[71:72], v[204:205]
	v_add_f64_e32 v[77:78], v[87:88], v[77:78]
	v_mul_f64_e32 v[87:88], s[22:23], v[216:217]
	s_delay_alu instid0(VALU_DEP_3) | instskip(NEXT) | instid1(VALU_DEP_2)
	v_add_f64_e32 v[71:72], v[71:72], v[180:181]
	v_fma_f64 v[92:93], v[85:86], s[14:15], v[87:88]
	s_delay_alu instid0(VALU_DEP_2) | instskip(NEXT) | instid1(VALU_DEP_2)
	v_add_f64_e32 v[71:72], v[71:72], v[208:209]
	v_add_f64_e32 v[77:78], v[92:93], v[77:78]
	s_delay_alu instid0(VALU_DEP_2)
	v_add_f64_e32 v[71:72], v[71:72], v[184:185]
	ds_store_2addr_b64 v68, v[71:72], v[77:78] offset1:7
	v_fma_f64 v[71:72], v[214:215], s[2:3], -v[75:76]
	v_fma_f64 v[75:76], v[79:80], s[6:7], -v[83:84]
	v_add_f64_e32 v[79:80], v[168:169], v[150:151]
	v_add_f64_e32 v[83:84], v[156:157], v[198:199]
	v_add_f64_e64 v[77:78], v[158:159], -v[200:201]
	v_add_f64_e32 v[71:72], v[71:72], v[222:223]
	s_delay_alu instid0(VALU_DEP_4) | instskip(NEXT) | instid1(VALU_DEP_2)
	v_add_f64_e32 v[79:80], v[79:80], v[156:157]
	v_add_f64_e32 v[71:72], v[73:74], v[71:72]
	v_fma_f64 v[73:74], v[85:86], s[14:15], -v[87:88]
	s_delay_alu instid0(VALU_DEP_3) | instskip(NEXT) | instid1(VALU_DEP_3)
	v_add_f64_e32 v[79:80], v[79:80], v[186:187]
	v_add_f64_e32 v[71:72], v[75:76], v[71:72]
	v_add_f64_e64 v[75:76], v[188:189], -v[172:173]
	s_delay_alu instid0(VALU_DEP_3) | instskip(NEXT) | instid1(VALU_DEP_3)
	v_add_f64_e32 v[79:80], v[79:80], v[152:153]
	v_add_f64_e32 v[71:72], v[73:74], v[71:72]
	v_add_f64_e64 v[73:74], v[160:161], -v[206:207]
	s_delay_alu instid0(VALU_DEP_3)
	v_add_f64_e32 v[79:80], v[79:80], v[62:63]
	v_mul_f64_e32 v[104:105], s[20:21], v[75:76]
	v_add_f64_e32 v[62:63], v[62:63], v[154:155]
	ds_store_b64 v68, v[71:72] offset:560
	v_add_f64_e64 v[71:72], v[182:183], -v[178:179]
	v_mul_f64_e32 v[92:93], s[16:17], v[73:74]
	v_add_f64_e32 v[79:80], v[79:80], v[154:155]
	v_mul_f64_e32 v[138:139], s[24:25], v[73:74]
	s_delay_alu instid0(VALU_DEP_4) | instskip(NEXT) | instid1(VALU_DEP_4)
	v_mul_f64_e32 v[85:86], s[34:35], v[71:72]
	v_fma_f64 v[94:95], v[83:84], s[2:3], v[92:93]
	s_delay_alu instid0(VALU_DEP_3) | instskip(NEXT) | instid1(VALU_DEP_3)
	v_fma_f64 v[140:141], v[83:84], s[14:15], v[138:139]
	v_fma_f64 v[87:88], v[81:82], s[30:31], v[85:86]
	s_delay_alu instid0(VALU_DEP_1) | instskip(NEXT) | instid1(VALU_DEP_1)
	v_add_f64_e32 v[87:88], v[168:169], v[87:88]
	v_add_f64_e32 v[87:88], v[94:95], v[87:88]
	;; [unrolled: 1-line block ×5, first 2 shown]
	s_delay_alu instid0(VALU_DEP_2) | instskip(NEXT) | instid1(VALU_DEP_2)
	v_add_f64_e32 v[66:67], v[66:67], v[146:147]
	v_fma_f64 v[106:107], v[79:80], s[18:19], v[104:105]
	s_delay_alu instid0(VALU_DEP_2) | instskip(NEXT) | instid1(VALU_DEP_2)
	v_add_f64_e32 v[66:67], v[66:67], v[198:199]
	v_add_f64_e32 v[87:88], v[106:107], v[87:88]
	v_mul_f64_e32 v[106:107], s[12:13], v[77:78]
	s_delay_alu instid0(VALU_DEP_3) | instskip(NEXT) | instid1(VALU_DEP_2)
	v_add_f64_e32 v[66:67], v[66:67], v[148:149]
	v_fma_f64 v[108:109], v[94:95], s[6:7], v[106:107]
	s_delay_alu instid0(VALU_DEP_1) | instskip(SKIP_1) | instid1(VALU_DEP_1)
	v_add_f64_e32 v[87:88], v[108:109], v[87:88]
	v_mul_f64_e32 v[108:109], s[22:23], v[64:65]
	v_fma_f64 v[128:129], v[62:63], s[14:15], v[108:109]
	s_delay_alu instid0(VALU_DEP_1) | instskip(SKIP_4) | instid1(VALU_DEP_2)
	v_add_f64_e32 v[87:88], v[128:129], v[87:88]
	v_mul_f64_e32 v[128:129], s[12:13], v[73:74]
	ds_store_2addr_b64 v69, v[66:67], v[87:88] offset1:7
	v_mul_f64_e32 v[66:67], s[16:17], v[71:72]
	v_fma_f64 v[130:131], v[83:84], s[6:7], v[128:129]
	v_fma_f64 v[87:88], v[81:82], s[2:3], v[66:67]
	s_delay_alu instid0(VALU_DEP_1) | instskip(NEXT) | instid1(VALU_DEP_1)
	v_add_f64_e32 v[87:88], v[168:169], v[87:88]
	v_add_f64_e32 v[87:88], v[130:131], v[87:88]
	v_mul_f64_e32 v[130:131], s[20:21], v[71:72]
	s_delay_alu instid0(VALU_DEP_1) | instskip(NEXT) | instid1(VALU_DEP_1)
	v_fma_f64 v[136:137], v[81:82], s[18:19], v[130:131]
	v_add_f64_e32 v[136:137], v[168:169], v[136:137]
	s_delay_alu instid0(VALU_DEP_1) | instskip(SKIP_1) | instid1(VALU_DEP_1)
	v_add_f64_e32 v[136:137], v[140:141], v[136:137]
	v_mul_f64_e32 v[140:141], s[24:25], v[75:76]
	v_fma_f64 v[146:147], v[79:80], s[14:15], v[140:141]
	s_delay_alu instid0(VALU_DEP_1) | instskip(SKIP_1) | instid1(VALU_DEP_1)
	v_add_f64_e32 v[87:88], v[146:147], v[87:88]
	v_mul_f64_e32 v[146:147], s[26:27], v[75:76]
	v_fma_f64 v[148:149], v[79:80], s[2:3], v[146:147]
	;; [unrolled: 4-line block ×6, first 2 shown]
	s_delay_alu instid0(VALU_DEP_1)
	v_add_f64_e32 v[136:137], v[156:157], v[136:137]
	v_mul_f64_e32 v[156:157], s[28:29], v[73:74]
	v_mul_f64_e32 v[73:74], s[36:37], v[73:74]
	ds_store_2addr_b64 v69, v[87:88], v[136:137] offset0:14 offset1:21
	v_mul_f64_e32 v[87:88], s[12:13], v[71:72]
	v_fma_f64 v[158:159], v[83:84], s[18:19], v[156:157]
	v_mul_f64_e32 v[71:72], s[22:23], v[71:72]
	v_fma_f64 v[160:161], v[83:84], s[30:31], v[73:74]
	v_fma_f64 v[73:74], v[83:84], s[30:31], -v[73:74]
	v_fma_f64 v[136:137], v[81:82], s[6:7], v[87:88]
	v_fma_f64 v[87:88], v[81:82], s[6:7], -v[87:88]
	s_delay_alu instid0(VALU_DEP_2) | instskip(NEXT) | instid1(VALU_DEP_2)
	v_add_f64_e32 v[136:137], v[168:169], v[136:137]
	v_add_f64_e32 v[87:88], v[168:169], v[87:88]
	s_delay_alu instid0(VALU_DEP_2) | instskip(SKIP_2) | instid1(VALU_DEP_2)
	v_add_f64_e32 v[136:137], v[158:159], v[136:137]
	v_fma_f64 v[158:159], v[81:82], s[14:15], v[71:72]
	v_fma_f64 v[71:72], v[81:82], s[14:15], -v[71:72]
	v_add_f64_e32 v[158:159], v[168:169], v[158:159]
	s_delay_alu instid0(VALU_DEP_2) | instskip(NEXT) | instid1(VALU_DEP_2)
	v_add_f64_e32 v[71:72], v[168:169], v[71:72]
	v_add_f64_e32 v[158:159], v[160:161], v[158:159]
	v_mul_f64_e32 v[160:161], s[34:35], v[75:76]
	v_mul_f64_e32 v[75:76], s[12:13], v[75:76]
	s_delay_alu instid0(VALU_DEP_4) | instskip(NEXT) | instid1(VALU_DEP_3)
	v_add_f64_e32 v[71:72], v[73:74], v[71:72]
	v_fma_f64 v[162:163], v[79:80], s[30:31], v[160:161]
	v_fma_f64 v[73:74], v[79:80], s[30:31], -v[160:161]
	s_delay_alu instid0(VALU_DEP_2) | instskip(SKIP_2) | instid1(VALU_DEP_2)
	v_add_f64_e32 v[136:137], v[162:163], v[136:137]
	v_fma_f64 v[162:163], v[79:80], s[6:7], v[75:76]
	v_fma_f64 v[75:76], v[79:80], s[6:7], -v[75:76]
	v_add_f64_e32 v[158:159], v[162:163], v[158:159]
	v_mul_f64_e32 v[162:163], s[22:23], v[77:78]
	v_mul_f64_e32 v[77:78], s[26:27], v[77:78]
	s_delay_alu instid0(VALU_DEP_4) | instskip(NEXT) | instid1(VALU_DEP_3)
	v_add_f64_e32 v[71:72], v[75:76], v[71:72]
	v_fma_f64 v[170:171], v[94:95], s[14:15], v[162:163]
	v_fma_f64 v[75:76], v[94:95], s[14:15], -v[162:163]
	s_delay_alu instid0(VALU_DEP_2) | instskip(SKIP_1) | instid1(VALU_DEP_1)
	v_add_f64_e32 v[136:137], v[170:171], v[136:137]
	v_fma_f64 v[170:171], v[94:95], s[2:3], v[77:78]
	v_add_f64_e32 v[158:159], v[170:171], v[158:159]
	v_mul_f64_e32 v[170:171], s[26:27], v[64:65]
	v_mul_f64_e32 v[64:65], s[20:21], v[64:65]
	s_delay_alu instid0(VALU_DEP_2) | instskip(NEXT) | instid1(VALU_DEP_1)
	v_fma_f64 v[172:173], v[62:63], s[2:3], v[170:171]
	v_add_f64_e32 v[136:137], v[172:173], v[136:137]
	s_delay_alu instid0(VALU_DEP_3) | instskip(SKIP_1) | instid1(VALU_DEP_2)
	v_fma_f64 v[172:173], v[62:63], s[18:19], v[64:65]
	v_fma_f64 v[64:65], v[62:63], s[18:19], -v[64:65]
	v_add_f64_e32 v[158:159], v[172:173], v[158:159]
	ds_store_2addr_b64 v69, v[136:137], v[158:159] offset0:28 offset1:35
	v_fma_f64 v[136:137], v[83:84], s[18:19], -v[156:157]
	s_delay_alu instid0(VALU_DEP_1) | instskip(NEXT) | instid1(VALU_DEP_1)
	v_add_f64_e32 v[87:88], v[136:137], v[87:88]
	v_add_f64_e32 v[73:74], v[73:74], v[87:88]
	scratch_load_b64 v[87:88], off, off offset:200 th:TH_LOAD_LU ; 8-byte Folded Reload
	v_add_f64_e32 v[73:74], v[75:76], v[73:74]
	v_fma_f64 v[75:76], v[94:95], s[2:3], -v[77:78]
	scratch_load_b64 v[77:78], off, off offset:192 th:TH_LOAD_LU ; 8-byte Folded Reload
	v_add_f64_e32 v[71:72], v[75:76], v[71:72]
	v_fma_f64 v[75:76], v[62:63], s[2:3], -v[170:171]
	s_delay_alu instid0(VALU_DEP_2) | instskip(NEXT) | instid1(VALU_DEP_2)
	v_add_f64_e32 v[64:65], v[64:65], v[71:72]
	v_add_f64_e32 v[73:74], v[75:76], v[73:74]
	v_fma_f64 v[71:72], v[83:84], s[14:15], -v[138:139]
	scratch_load_b64 v[75:76], off, off offset:184 th:TH_LOAD_LU ; 8-byte Folded Reload
	ds_store_2addr_b64 v69, v[64:65], v[73:74] offset0:42 offset1:49
	v_fma_f64 v[64:65], v[81:82], s[2:3], -v[66:67]
	v_fma_f64 v[66:67], v[83:84], s[6:7], -v[128:129]
	v_add_f64_e32 v[73:74], v[120:121], v[116:117]
	s_delay_alu instid0(VALU_DEP_3) | instskip(NEXT) | instid1(VALU_DEP_1)
	v_add_f64_e32 v[64:65], v[168:169], v[64:65]
	v_add_f64_e32 v[64:65], v[66:67], v[64:65]
	v_fma_f64 v[66:67], v[81:82], s[18:19], -v[130:131]
	s_delay_alu instid0(VALU_DEP_1) | instskip(NEXT) | instid1(VALU_DEP_1)
	v_add_f64_e32 v[66:67], v[168:169], v[66:67]
	v_add_f64_e32 v[66:67], v[71:72], v[66:67]
	v_fma_f64 v[71:72], v[79:80], s[14:15], -v[140:141]
	s_delay_alu instid0(VALU_DEP_1) | instskip(SKIP_1) | instid1(VALU_DEP_1)
	v_add_f64_e32 v[64:65], v[71:72], v[64:65]
	v_fma_f64 v[71:72], v[79:80], s[2:3], -v[146:147]
	v_add_f64_e32 v[66:67], v[71:72], v[66:67]
	v_fma_f64 v[71:72], v[94:95], s[18:19], -v[148:149]
	s_delay_alu instid0(VALU_DEP_1) | instskip(SKIP_1) | instid1(VALU_DEP_1)
	v_add_f64_e32 v[64:65], v[71:72], v[64:65]
	v_fma_f64 v[71:72], v[94:95], s[30:31], -v[150:151]
	v_add_f64_e32 v[66:67], v[71:72], v[66:67]
	v_fma_f64 v[71:72], v[62:63], s[30:31], -v[152:153]
	s_delay_alu instid0(VALU_DEP_1) | instskip(SKIP_2) | instid1(VALU_DEP_2)
	v_add_f64_e32 v[64:65], v[71:72], v[64:65]
	v_fma_f64 v[71:72], v[62:63], s[6:7], -v[154:155]
	v_fma_f64 v[62:63], v[62:63], s[14:15], -v[108:109]
	v_add_f64_e32 v[66:67], v[71:72], v[66:67]
	v_fma_f64 v[71:72], v[79:80], s[18:19], -v[104:105]
	ds_store_2addr_b64 v69, v[66:67], v[64:65] offset0:56 offset1:63
	v_fma_f64 v[64:65], v[81:82], s[30:31], -v[85:86]
	v_fma_f64 v[66:67], v[83:84], s[2:3], -v[92:93]
	s_delay_alu instid0(VALU_DEP_2) | instskip(NEXT) | instid1(VALU_DEP_1)
	v_add_f64_e32 v[64:65], v[168:169], v[64:65]
	v_add_f64_e32 v[64:65], v[66:67], v[64:65]
	v_fma_f64 v[66:67], v[94:95], s[6:7], -v[106:107]
	s_delay_alu instid0(VALU_DEP_2) | instskip(SKIP_3) | instid1(VALU_DEP_3)
	v_add_f64_e32 v[64:65], v[71:72], v[64:65]
	s_wait_loadcnt 0x0
	v_add_f64_e32 v[71:72], v[166:167], v[75:76]
	v_add_f64_e32 v[75:76], v[75:76], v[90:91]
	;; [unrolled: 1-line block ×3, first 2 shown]
	v_add_f64_e64 v[66:67], v[126:127], -v[122:123]
	s_delay_alu instid0(VALU_DEP_4) | instskip(SKIP_1) | instid1(VALU_DEP_4)
	v_add_f64_e32 v[71:72], v[71:72], v[77:78]
	v_add_f64_e32 v[77:78], v[77:78], v[114:115]
	;; [unrolled: 1-line block ×3, first 2 shown]
	v_add_f64_e64 v[64:65], v[132:133], -v[142:143]
	s_delay_alu instid0(VALU_DEP_4)
	v_add_f64_e32 v[71:72], v[71:72], v[87:88]
	v_add_f64_e32 v[87:88], v[87:88], v[110:111]
	ds_store_b64 v69, v[62:63] offset:560
	scratch_load_b64 v[62:63], off, off offset:208 th:TH_LOAD_LU ; 8-byte Folded Reload
	v_mul_f64_e32 v[92:93], s[20:21], v[64:65]
	v_add_f64_e64 v[68:69], v[134:135], -v[118:119]
	v_add_f64_e32 v[71:72], v[71:72], v[124:125]
	s_delay_alu instid0(VALU_DEP_3) | instskip(NEXT) | instid1(VALU_DEP_2)
	v_fma_f64 v[94:95], v[87:88], s[18:19], v[92:93]
	v_add_f64_e32 v[71:72], v[71:72], v[120:121]
	s_delay_alu instid0(VALU_DEP_1) | instskip(NEXT) | instid1(VALU_DEP_1)
	v_add_f64_e32 v[71:72], v[71:72], v[116:117]
	v_add_f64_e32 v[71:72], v[71:72], v[112:113]
	s_delay_alu instid0(VALU_DEP_1) | instskip(NEXT) | instid1(VALU_DEP_1)
	v_add_f64_e32 v[71:72], v[71:72], v[110:111]
	v_add_f64_e32 v[71:72], v[71:72], v[114:115]
	s_delay_alu instid0(VALU_DEP_1) | instskip(SKIP_4) | instid1(VALU_DEP_1)
	v_add_f64_e32 v[71:72], v[71:72], v[90:91]
	s_wait_loadcnt 0x0
	v_add_f64_e64 v[60:61], v[62:63], -v[60:61]
	scratch_load_b64 v[62:63], off, off offset:216 th:TH_LOAD_LU ; 8-byte Folded Reload
	v_mul_f64_e32 v[79:80], s[34:35], v[60:61]
	v_fma_f64 v[81:82], v[75:76], s[30:31], v[79:80]
	s_delay_alu instid0(VALU_DEP_1) | instskip(SKIP_2) | instid1(VALU_DEP_1)
	v_add_f64_e32 v[81:82], v[166:167], v[81:82]
	s_wait_loadcnt 0x0
	v_add_f64_e64 v[62:63], v[62:63], -v[144:145]
	v_mul_f64_e32 v[83:84], s[16:17], v[62:63]
	v_mul_f64_e32 v[89:90], s[12:13], v[62:63]
	;; [unrolled: 1-line block ×3, first 2 shown]
	s_delay_alu instid0(VALU_DEP_3) | instskip(NEXT) | instid1(VALU_DEP_1)
	v_fma_f64 v[85:86], v[77:78], s[2:3], v[83:84]
	v_add_f64_e32 v[81:82], v[85:86], v[81:82]
	v_add_f64_e32 v[85:86], v[124:125], v[112:113]
	s_delay_alu instid0(VALU_DEP_4) | instskip(NEXT) | instid1(VALU_DEP_3)
	v_fma_f64 v[112:113], v[77:78], s[14:15], v[110:111]
	v_add_f64_e32 v[81:82], v[94:95], v[81:82]
	v_mul_f64_e32 v[94:95], s[12:13], v[66:67]
	s_delay_alu instid0(VALU_DEP_1) | instskip(NEXT) | instid1(VALU_DEP_1)
	v_fma_f64 v[104:105], v[85:86], s[6:7], v[94:95]
	v_add_f64_e32 v[81:82], v[104:105], v[81:82]
	v_mul_f64_e32 v[104:105], s[22:23], v[68:69]
	s_delay_alu instid0(VALU_DEP_1) | instskip(NEXT) | instid1(VALU_DEP_1)
	v_fma_f64 v[106:107], v[73:74], s[14:15], v[104:105]
	v_add_f64_e32 v[81:82], v[106:107], v[81:82]
	v_fma_f64 v[106:107], v[77:78], s[6:7], v[89:90]
	ds_store_2addr_b64 v70, v[71:72], v[81:82] offset1:7
	v_mul_f64_e32 v[71:72], s[16:17], v[60:61]
	s_delay_alu instid0(VALU_DEP_1) | instskip(NEXT) | instid1(VALU_DEP_1)
	v_fma_f64 v[81:82], v[75:76], s[2:3], v[71:72]
	v_add_f64_e32 v[81:82], v[166:167], v[81:82]
	s_delay_alu instid0(VALU_DEP_1) | instskip(SKIP_1) | instid1(VALU_DEP_1)
	v_add_f64_e32 v[81:82], v[106:107], v[81:82]
	v_mul_f64_e32 v[106:107], s[20:21], v[60:61]
	v_fma_f64 v[108:109], v[75:76], s[18:19], v[106:107]
	s_delay_alu instid0(VALU_DEP_1) | instskip(NEXT) | instid1(VALU_DEP_1)
	v_add_f64_e32 v[108:109], v[166:167], v[108:109]
	v_add_f64_e32 v[108:109], v[112:113], v[108:109]
	v_mul_f64_e32 v[112:113], s[24:25], v[64:65]
	s_delay_alu instid0(VALU_DEP_1) | instskip(NEXT) | instid1(VALU_DEP_1)
	v_fma_f64 v[114:115], v[87:88], s[14:15], v[112:113]
	v_add_f64_e32 v[81:82], v[114:115], v[81:82]
	v_mul_f64_e32 v[114:115], s[26:27], v[64:65]
	s_delay_alu instid0(VALU_DEP_1) | instskip(NEXT) | instid1(VALU_DEP_1)
	v_fma_f64 v[116:117], v[87:88], s[2:3], v[114:115]
	;; [unrolled: 4-line block ×6, first 2 shown]
	v_add_f64_e32 v[108:109], v[124:125], v[108:109]
	v_mul_f64_e32 v[124:125], s[28:29], v[62:63]
	v_mul_f64_e32 v[62:63], s[36:37], v[62:63]
	ds_store_2addr_b64 v70, v[81:82], v[108:109] offset0:14 offset1:21
	v_mul_f64_e32 v[81:82], s[12:13], v[60:61]
	v_fma_f64 v[126:127], v[77:78], s[18:19], v[124:125]
	v_mul_f64_e32 v[60:61], s[22:23], v[60:61]
	v_fma_f64 v[128:129], v[77:78], s[30:31], v[62:63]
	v_fma_f64 v[62:63], v[77:78], s[30:31], -v[62:63]
	v_fma_f64 v[108:109], v[75:76], s[6:7], v[81:82]
	v_fma_f64 v[81:82], v[75:76], s[6:7], -v[81:82]
	s_delay_alu instid0(VALU_DEP_2) | instskip(NEXT) | instid1(VALU_DEP_2)
	v_add_f64_e32 v[108:109], v[166:167], v[108:109]
	v_add_f64_e32 v[81:82], v[166:167], v[81:82]
	s_delay_alu instid0(VALU_DEP_2) | instskip(SKIP_2) | instid1(VALU_DEP_2)
	v_add_f64_e32 v[108:109], v[126:127], v[108:109]
	v_fma_f64 v[126:127], v[75:76], s[14:15], v[60:61]
	v_fma_f64 v[60:61], v[75:76], s[14:15], -v[60:61]
	v_add_f64_e32 v[126:127], v[166:167], v[126:127]
	s_delay_alu instid0(VALU_DEP_2) | instskip(NEXT) | instid1(VALU_DEP_2)
	v_add_f64_e32 v[60:61], v[166:167], v[60:61]
	v_add_f64_e32 v[126:127], v[128:129], v[126:127]
	v_mul_f64_e32 v[128:129], s[34:35], v[64:65]
	v_mul_f64_e32 v[64:65], s[12:13], v[64:65]
	s_delay_alu instid0(VALU_DEP_4) | instskip(NEXT) | instid1(VALU_DEP_3)
	v_add_f64_e32 v[60:61], v[62:63], v[60:61]
	v_fma_f64 v[130:131], v[87:88], s[30:31], v[128:129]
	v_fma_f64 v[62:63], v[87:88], s[30:31], -v[128:129]
	s_delay_alu instid0(VALU_DEP_2) | instskip(SKIP_2) | instid1(VALU_DEP_2)
	v_add_f64_e32 v[108:109], v[130:131], v[108:109]
	v_fma_f64 v[130:131], v[87:88], s[6:7], v[64:65]
	v_fma_f64 v[64:65], v[87:88], s[6:7], -v[64:65]
	v_add_f64_e32 v[126:127], v[130:131], v[126:127]
	v_mul_f64_e32 v[130:131], s[22:23], v[66:67]
	v_mul_f64_e32 v[66:67], s[26:27], v[66:67]
	s_delay_alu instid0(VALU_DEP_4) | instskip(NEXT) | instid1(VALU_DEP_3)
	v_add_f64_e32 v[60:61], v[64:65], v[60:61]
	v_fma_f64 v[132:133], v[85:86], s[14:15], v[130:131]
	v_fma_f64 v[64:65], v[85:86], s[14:15], -v[130:131]
	s_delay_alu instid0(VALU_DEP_2) | instskip(SKIP_1) | instid1(VALU_DEP_1)
	v_add_f64_e32 v[108:109], v[132:133], v[108:109]
	v_fma_f64 v[132:133], v[85:86], s[2:3], v[66:67]
	v_add_f64_e32 v[126:127], v[132:133], v[126:127]
	v_mul_f64_e32 v[132:133], s[26:27], v[68:69]
	v_mul_f64_e32 v[68:69], s[20:21], v[68:69]
	s_delay_alu instid0(VALU_DEP_2) | instskip(NEXT) | instid1(VALU_DEP_1)
	v_fma_f64 v[134:135], v[73:74], s[2:3], v[132:133]
	v_add_f64_e32 v[108:109], v[134:135], v[108:109]
	s_delay_alu instid0(VALU_DEP_3) | instskip(NEXT) | instid1(VALU_DEP_1)
	v_fma_f64 v[134:135], v[73:74], s[18:19], v[68:69]
	v_add_f64_e32 v[126:127], v[134:135], v[126:127]
	ds_store_2addr_b64 v70, v[108:109], v[126:127] offset0:28 offset1:35
	v_fma_f64 v[108:109], v[77:78], s[18:19], -v[124:125]
	s_delay_alu instid0(VALU_DEP_1) | instskip(NEXT) | instid1(VALU_DEP_1)
	v_add_f64_e32 v[81:82], v[108:109], v[81:82]
	v_add_f64_e32 v[62:63], v[62:63], v[81:82]
	s_delay_alu instid0(VALU_DEP_1) | instskip(SKIP_1) | instid1(VALU_DEP_1)
	v_add_f64_e32 v[62:63], v[64:65], v[62:63]
	v_fma_f64 v[64:65], v[85:86], s[2:3], -v[66:67]
	v_add_f64_e32 v[60:61], v[64:65], v[60:61]
	v_fma_f64 v[64:65], v[73:74], s[2:3], -v[132:133]
	s_delay_alu instid0(VALU_DEP_1) | instskip(SKIP_1) | instid1(VALU_DEP_1)
	v_add_f64_e32 v[62:63], v[64:65], v[62:63]
	v_fma_f64 v[64:65], v[73:74], s[18:19], -v[68:69]
	v_add_f64_e32 v[60:61], v[64:65], v[60:61]
	v_fma_f64 v[64:65], v[77:78], s[14:15], -v[110:111]
	ds_store_2addr_b64 v70, v[60:61], v[62:63] offset0:42 offset1:49
	v_fma_f64 v[60:61], v[75:76], s[2:3], -v[71:72]
	v_fma_f64 v[62:63], v[77:78], s[6:7], -v[89:90]
	s_delay_alu instid0(VALU_DEP_2) | instskip(NEXT) | instid1(VALU_DEP_1)
	v_add_f64_e32 v[60:61], v[166:167], v[60:61]
	v_add_f64_e32 v[60:61], v[62:63], v[60:61]
	v_fma_f64 v[62:63], v[75:76], s[18:19], -v[106:107]
	s_delay_alu instid0(VALU_DEP_1) | instskip(NEXT) | instid1(VALU_DEP_1)
	v_add_f64_e32 v[62:63], v[166:167], v[62:63]
	v_add_f64_e32 v[62:63], v[64:65], v[62:63]
	v_fma_f64 v[64:65], v[87:88], s[14:15], -v[112:113]
	s_delay_alu instid0(VALU_DEP_1) | instskip(SKIP_1) | instid1(VALU_DEP_1)
	v_add_f64_e32 v[60:61], v[64:65], v[60:61]
	v_fma_f64 v[64:65], v[87:88], s[2:3], -v[114:115]
	v_add_f64_e32 v[62:63], v[64:65], v[62:63]
	v_fma_f64 v[64:65], v[85:86], s[18:19], -v[116:117]
	s_delay_alu instid0(VALU_DEP_1) | instskip(SKIP_1) | instid1(VALU_DEP_1)
	v_add_f64_e32 v[60:61], v[64:65], v[60:61]
	v_fma_f64 v[64:65], v[85:86], s[30:31], -v[118:119]
	;; [unrolled: 5-line block ×3, first 2 shown]
	v_add_f64_e32 v[62:63], v[64:65], v[62:63]
	v_fma_f64 v[64:65], v[87:88], s[18:19], -v[92:93]
	ds_store_2addr_b64 v70, v[62:63], v[60:61] offset0:56 offset1:63
	v_fma_f64 v[60:61], v[75:76], s[30:31], -v[79:80]
	v_fma_f64 v[62:63], v[77:78], s[2:3], -v[83:84]
	s_delay_alu instid0(VALU_DEP_2) | instskip(NEXT) | instid1(VALU_DEP_1)
	v_add_f64_e32 v[60:61], v[166:167], v[60:61]
	v_add_f64_e32 v[60:61], v[62:63], v[60:61]
	v_fma_f64 v[62:63], v[85:86], s[6:7], -v[94:95]
	s_delay_alu instid0(VALU_DEP_2) | instskip(NEXT) | instid1(VALU_DEP_1)
	v_add_f64_e32 v[60:61], v[64:65], v[60:61]
	v_add_f64_e32 v[60:61], v[62:63], v[60:61]
	v_fma_f64 v[62:63], v[73:74], s[14:15], -v[104:105]
	s_delay_alu instid0(VALU_DEP_1)
	v_add_f64_e32 v[60:61], v[62:63], v[60:61]
	ds_store_b64 v70, v[60:61] offset:560
	s_and_saveexec_b32 s30, s0
	s_cbranch_execz .LBB0_21
; %bb.20:
	s_clause 0x5
	scratch_load_b64 v[64:65], off, off offset:168 th:TH_LOAD_LU
	scratch_load_b64 v[78:79], off, off offset:120 th:TH_LOAD_LU
	scratch_load_b64 v[62:63], off, off offset:160 th:TH_LOAD_LU
	scratch_load_b64 v[66:67], off, off offset:176 th:TH_LOAD_LU
	scratch_load_b64 v[106:107], off, off offset:112 th:TH_LOAD_LU
	scratch_load_b64 v[146:147], off, off offset:16 th:TH_LOAD_LU
	s_mov_b32 s24, 0xf8bb580b
	s_mov_b32 s14, 0x43842ef
	;; [unrolled: 1-line block ×22, first 2 shown]
	s_wait_alu 0xfffe
	s_mov_b32 s34, s20
	s_mov_b32 s28, s14
	;; [unrolled: 1-line block ×3, first 2 shown]
	s_wait_loadcnt 0x5
	v_add_f64_e32 v[60:61], v[164:165], v[64:65]
	s_wait_loadcnt 0x2
	v_add_f64_e64 v[62:63], v[62:63], -v[66:67]
	s_clause 0x7
	scratch_load_b64 v[66:67], off, off offset:144 th:TH_LOAD_LU
	scratch_load_b64 v[68:69], off, off offset:152 th:TH_LOAD_LU
	;; [unrolled: 1-line block ×8, first 2 shown]
	s_wait_loadcnt 0x8
	v_add_f64_e32 v[64:65], v[64:65], v[146:147]
	v_add_f64_e32 v[60:61], v[60:61], v[78:79]
	v_mul_f64_e32 v[70:71], s[12:13], v[62:63]
	v_mul_f64_e32 v[72:73], s[14:15], v[62:63]
	;; [unrolled: 1-line block ×3, first 2 shown]
	s_delay_alu instid0(VALU_DEP_4) | instskip(NEXT) | instid1(VALU_DEP_4)
	v_add_f64_e32 v[60:61], v[60:61], v[106:107]
	v_fma_f64 v[90:91], v[64:65], s[0:1], v[70:71]
	v_fma_f64 v[70:71], v[64:65], s[0:1], -v[70:71]
	v_fma_f64 v[92:93], v[64:65], s[2:3], v[72:73]
	v_fma_f64 v[94:95], v[64:65], s[18:19], v[74:75]
	v_fma_f64 v[74:75], v[64:65], s[18:19], -v[74:75]
	v_fma_f64 v[72:73], v[64:65], s[2:3], -v[72:73]
	v_add_f64_e32 v[70:71], v[164:165], v[70:71]
	s_delay_alu instid0(VALU_DEP_3) | instskip(NEXT) | instid1(VALU_DEP_3)
	v_add_f64_e32 v[74:75], v[164:165], v[74:75]
	v_add_f64_e32 v[72:73], v[164:165], v[72:73]
	s_wait_loadcnt 0x6
	v_add_f64_e64 v[66:67], v[66:67], -v[68:69]
	v_mul_f64_e32 v[68:69], s[24:25], v[62:63]
	v_mul_f64_e32 v[62:63], s[20:21], v[62:63]
	s_wait_loadcnt 0x3
	v_add_f64_e64 v[76:77], v[76:77], -v[80:81]
	s_wait_loadcnt 0x2
	v_add_f64_e32 v[78:79], v[78:79], v[148:149]
	v_add_f64_e32 v[60:61], v[60:61], v[126:127]
	v_mul_f64_e32 v[80:81], s[12:13], v[66:67]
	v_fma_f64 v[88:89], v[64:65], s[6:7], v[68:69]
	v_fma_f64 v[104:105], v[64:65], s[22:23], v[62:63]
	v_fma_f64 v[62:63], v[64:65], s[22:23], -v[62:63]
	v_fma_f64 v[64:65], v[64:65], s[6:7], -v[68:69]
	s_wait_loadcnt 0x1
	v_add_f64_e32 v[68:69], v[106:107], v[150:151]
	s_clause 0x3
	scratch_load_b64 v[106:107], off, off offset:96 th:TH_LOAD_LU
	scratch_load_b64 v[108:109], off, off offset:104 th:TH_LOAD_LU
	;; [unrolled: 1-line block ×4, first 2 shown]
	v_mul_f64_e32 v[82:83], s[16:17], v[66:67]
	s_wait_alu 0xfffe
	v_mul_f64_e32 v[84:85], s[34:35], v[66:67]
	v_mul_f64_e32 v[86:87], s[28:29], v[66:67]
	;; [unrolled: 1-line block ×3, first 2 shown]
	s_wait_loadcnt 0x4
	v_add_f64_e32 v[60:61], v[60:61], v[152:153]
	s_mov_b32 s13, 0x3fed1bb4
	v_mul_f64_e32 v[110:111], s[34:35], v[76:77]
	v_mul_f64_e32 v[112:113], s[24:25], v[76:77]
	;; [unrolled: 1-line block ×3, first 2 shown]
	v_fma_f64 v[116:117], v[78:79], s[0:1], v[80:81]
	v_fma_f64 v[80:81], v[78:79], s[0:1], -v[80:81]
	v_add_f64_e32 v[62:63], v[164:165], v[62:63]
	v_add_f64_e32 v[64:65], v[164:165], v[64:65]
	v_fma_f64 v[118:119], v[78:79], s[18:19], v[82:83]
	v_fma_f64 v[82:83], v[78:79], s[18:19], -v[82:83]
	v_fma_f64 v[120:121], v[78:79], s[22:23], v[84:85]
	v_fma_f64 v[84:85], v[78:79], s[22:23], -v[84:85]
	;; [unrolled: 2-line block ×4, first 2 shown]
	v_add_f64_e32 v[78:79], v[164:165], v[88:89]
	v_add_f64_e32 v[88:89], v[164:165], v[90:91]
	v_add_f64_e32 v[90:91], v[164:165], v[92:93]
	v_add_f64_e32 v[92:93], v[164:165], v[94:95]
	v_add_f64_e32 v[94:95], v[164:165], v[104:105]
	v_fma_f64 v[138:139], v[68:69], s[22:23], v[110:111]
	v_fma_f64 v[110:111], v[68:69], s[22:23], -v[110:111]
	v_fma_f64 v[140:141], v[68:69], s[6:7], v[112:113]
	v_fma_f64 v[112:113], v[68:69], s[6:7], -v[112:113]
	;; [unrolled: 2-line block ×3, first 2 shown]
	v_add_f64_e32 v[64:65], v[80:81], v[64:65]
	v_add_f64_e32 v[70:71], v[82:83], v[70:71]
	;; [unrolled: 1-line block ×10, first 2 shown]
	s_delay_alu instid0(VALU_DEP_4)
	v_add_f64_e32 v[86:87], v[142:143], v[86:87]
	s_wait_loadcnt 0x2
	v_add_f64_e64 v[106:107], v[106:107], -v[108:109]
	v_mul_f64_e32 v[108:109], s[14:15], v[76:77]
	s_wait_loadcnt 0x0
	v_add_f64_e32 v[104:105], v[126:127], v[156:157]
	s_clause 0x1
	scratch_load_b64 v[126:127], off, off offset:72 th:TH_LOAD_LU
	scratch_load_b64 v[128:129], off, off offset:80 th:TH_LOAD_LU
	s_wait_alu 0xfffe
	v_mul_f64_e32 v[76:77], s[12:13], v[76:77]
	v_add_f64_e32 v[60:61], v[60:61], v[154:155]
	v_add_f64_e32 v[72:73], v[152:153], v[154:155]
	v_mul_f64_e32 v[130:131], s[28:29], v[106:107]
	v_mul_f64_e32 v[132:133], s[24:25], v[106:107]
	v_fma_f64 v[136:137], v[68:69], s[2:3], v[108:109]
	v_fma_f64 v[108:109], v[68:69], s[2:3], -v[108:109]
	v_fma_f64 v[144:145], v[68:69], s[0:1], v[76:77]
	v_fma_f64 v[68:69], v[68:69], s[0:1], -v[76:77]
	v_add_f64_e32 v[76:77], v[116:117], v[78:79]
	v_add_f64_e32 v[78:79], v[118:119], v[88:89]
	v_mul_f64_e32 v[134:135], s[20:21], v[106:107]
	v_add_f64_e32 v[88:89], v[122:123], v[92:93]
	v_add_f64_e32 v[60:61], v[60:61], v[156:157]
	v_fma_f64 v[120:121], v[104:105], s[2:3], v[130:131]
	v_fma_f64 v[124:125], v[104:105], s[6:7], v[132:133]
	v_fma_f64 v[122:123], v[104:105], s[2:3], -v[130:131]
	v_add_f64_e32 v[64:65], v[108:109], v[64:65]
	v_add_f64_e32 v[82:83], v[144:145], v[82:83]
	;; [unrolled: 1-line block ×5, first 2 shown]
	v_fma_f64 v[130:131], v[104:105], s[22:23], -v[134:135]
	v_add_f64_e32 v[88:89], v[140:141], v[88:89]
	v_add_f64_e32 v[60:61], v[60:61], v[150:151]
	;; [unrolled: 1-line block ×7, first 2 shown]
	s_delay_alu instid0(VALU_DEP_1) | instskip(SKIP_4) | instid1(VALU_DEP_3)
	v_add_f64_e32 v[60:61], v[60:61], v[146:147]
	s_wait_loadcnt 0x0
	v_add_f64_e64 v[126:127], v[126:127], -v[128:129]
	v_mul_f64_e32 v[128:129], s[16:17], v[106:107]
	v_mul_f64_e32 v[106:107], s[12:13], v[106:107]
	;; [unrolled: 1-line block ×5, first 2 shown]
	v_fma_f64 v[116:117], v[104:105], s[18:19], v[128:129]
	v_mul_f64_e32 v[92:93], s[14:15], v[126:127]
	v_mul_f64_e32 v[94:95], s[12:13], v[126:127]
	v_fma_f64 v[118:119], v[104:105], s[18:19], -v[128:129]
	v_fma_f64 v[126:127], v[104:105], s[6:7], -v[132:133]
	v_fma_f64 v[128:129], v[104:105], s[22:23], v[134:135]
	v_fma_f64 v[132:133], v[104:105], s[0:1], v[106:107]
	v_fma_f64 v[104:105], v[104:105], s[0:1], -v[106:107]
	v_fma_f64 v[68:69], v[72:73], s[22:23], v[80:81]
	v_fma_f64 v[106:107], v[72:73], s[6:7], v[84:85]
	;; [unrolled: 1-line block ×3, first 2 shown]
	v_add_f64_e32 v[76:77], v[116:117], v[76:77]
	v_fma_f64 v[80:81], v[72:73], s[22:23], -v[80:81]
	v_fma_f64 v[84:85], v[72:73], s[6:7], -v[84:85]
	;; [unrolled: 1-line block ×3, first 2 shown]
	v_fma_f64 v[110:111], v[72:73], s[2:3], v[92:93]
	v_fma_f64 v[92:93], v[72:73], s[2:3], -v[92:93]
	v_fma_f64 v[112:113], v[72:73], s[0:1], v[94:95]
	v_fma_f64 v[72:73], v[72:73], s[0:1], -v[94:95]
	v_add_f64_e32 v[88:89], v[128:129], v[88:89]
	v_add_f64_e32 v[86:87], v[132:133], v[86:87]
	;; [unrolled: 1-line block ×15, first 2 shown]
	v_mul_u32_u24_e32 v80, 0x268, v96
	s_delay_alu instid0(VALU_DEP_1)
	v_add3_u32 v80, 0, v80, v195
	ds_store_2addr_b64 v80, v[76:77], v[78:79] offset0:14 offset1:21
	ds_store_2addr_b64 v80, v[82:83], v[74:75] offset0:28 offset1:35
	;; [unrolled: 1-line block ×4, first 2 shown]
	ds_store_2addr_b64 v80, v[60:61], v[68:69] offset1:7
	ds_store_b64 v80, v[64:65] offset:560
.LBB0_21:
	s_wait_alu 0xfffe
	s_or_b32 exec_lo, exec_lo, s30
	v_dual_mov_b32 v64, 0 :: v_dual_lshlrev_b32 v63, 2, v246
	global_wb scope:SCOPE_SE
	s_wait_dscnt 0x0
	s_barrier_signal -1
	s_barrier_wait -1
	global_inv scope:SCOPE_SE
	v_lshlrev_b64_e32 v[60:61], 4, v[63:64]
	ds_load_2addr_b64 v[69:72], v251 offset0:129 offset1:184
	v_add_nc_u32_e32 v217, 0x14a, v246
	v_add_nc_u32_e32 v245, 0x113, v246
	s_mov_b32 s12, 0x134454ff
	s_mov_b32 s13, 0x3fee6f0e
	v_add_co_u32 v65, s0, s4, v60
	s_wait_alu 0xf1ff
	v_add_co_ci_u32_e64 v66, s0, s5, v61, s0
	v_cmp_gt_u32_e64 s0, 22, v246
	s_mov_b32 s6, 0x4755a5e
	s_mov_b32 s7, 0x3fe2cf23
	s_clause 0x1
	global_load_b128 v[60:63], v[65:66], off offset:1120
	global_load_b128 v[73:76], v[65:66], off offset:1136
	s_mov_b32 s2, 0x372fe950
	s_mov_b32 s3, 0x3fd3c6ef
	v_lshl_add_u32 v235, v219, 3, 0
	v_lshl_add_u32 v234, v255, 3, 0
	s_mov_b32 s17, 0xbfee6f0e
	s_wait_alu 0xfffe
	s_mov_b32 s16, s12
	s_mov_b32 s15, 0xbfe2cf23
	;; [unrolled: 1-line block ×3, first 2 shown]
	s_wait_loadcnt_dscnt 0x100
	v_mul_f64_e32 v[67:68], v[69:70], v[62:63]
	s_delay_alu instid0(VALU_DEP_1) | instskip(SKIP_1) | instid1(VALU_DEP_1)
	v_fma_f64 v[67:68], v[56:57], v[60:61], -v[67:68]
	v_mul_f64_e32 v[56:57], v[56:57], v[62:63]
	v_fma_f64 v[81:82], v[69:70], v[60:61], v[56:57]
	v_subrev_nc_u32_e32 v56, 22, v246
	s_delay_alu instid0(VALU_DEP_1) | instskip(NEXT) | instid1(VALU_DEP_1)
	v_cndmask_b32_e64 v69, v56, v248, s0
	v_lshlrev_b32_e32 v63, 2, v69
	s_delay_alu instid0(VALU_DEP_1) | instskip(NEXT) | instid1(VALU_DEP_1)
	v_lshlrev_b64_e32 v[56:57], 4, v[63:64]
	v_add_co_u32 v91, s0, s4, v56
	s_wait_alu 0xf1ff
	s_delay_alu instid0(VALU_DEP_2)
	v_add_co_ci_u32_e64 v92, s0, s5, v57, s0
	s_clause 0x1
	global_load_b128 v[60:63], v[91:92], off offset:1120
	global_load_b128 v[83:86], v[91:92], off offset:1136
	ds_load_2addr_b64 v[87:90], v253 offset0:131 offset1:186
	v_cmp_lt_u32_e64 s0, 21, v246
	global_load_b128 v[118:121], v[65:66], off offset:1168
	s_wait_loadcnt 0x2
	v_mul_f64_e32 v[56:57], v[71:72], v[62:63]
	s_delay_alu instid0(VALU_DEP_1) | instskip(SKIP_1) | instid1(VALU_DEP_1)
	v_fma_f64 v[79:80], v[58:59], v[60:61], -v[56:57]
	v_mul_f64_e32 v[56:57], v[58:59], v[62:63]
	v_fma_f64 v[77:78], v[71:72], v[60:61], v[56:57]
	global_load_b128 v[58:61], v[65:66], off offset:1152
	s_wait_loadcnt_dscnt 0x0
	v_mul_f64_e32 v[56:57], v[87:88], v[60:61]
	s_delay_alu instid0(VALU_DEP_1) | instskip(SKIP_1) | instid1(VALU_DEP_1)
	v_fma_f64 v[56:57], v[52:53], v[58:59], -v[56:57]
	v_mul_f64_e32 v[52:53], v[52:53], v[60:61]
	v_fma_f64 v[126:127], v[87:88], v[58:59], v[52:53]
	s_clause 0x1
	global_load_b128 v[58:61], v[91:92], off offset:1152
	global_load_b128 v[104:107], v[91:92], off offset:1168
	s_wait_loadcnt 0x1
	v_mul_f64_e32 v[52:53], v[89:90], v[60:61]
	s_delay_alu instid0(VALU_DEP_1) | instskip(SKIP_1) | instid1(VALU_DEP_1)
	v_fma_f64 v[116:117], v[54:55], v[58:59], -v[52:53]
	v_mul_f64_e32 v[52:53], v[54:55], v[60:61]
	v_fma_f64 v[93:94], v[89:90], v[58:59], v[52:53]
	ds_load_2addr_b64 v[52:55], v247 offset0:57 offset1:112
	s_wait_dscnt 0x0
	v_mul_f64_e32 v[58:59], v[52:53], v[85:86]
	s_delay_alu instid0(VALU_DEP_1) | instskip(SKIP_1) | instid1(VALU_DEP_1)
	v_fma_f64 v[122:123], v[48:49], v[83:84], -v[58:59]
	v_mul_f64_e32 v[48:49], v[48:49], v[85:86]
	v_fma_f64 v[108:109], v[52:53], v[83:84], v[48:49]
	v_and_b32_e32 v48, 0xff, v252
	s_delay_alu instid0(VALU_DEP_1) | instskip(NEXT) | instid1(VALU_DEP_1)
	v_mul_lo_u16 v48, 0xd5, v48
	v_lshrrev_b16 v48, 14, v48
	s_delay_alu instid0(VALU_DEP_1) | instskip(NEXT) | instid1(VALU_DEP_1)
	v_mul_lo_u16 v49, 0x4d, v48
	v_sub_nc_u16 v49, v252, v49
	s_delay_alu instid0(VALU_DEP_1) | instskip(NEXT) | instid1(VALU_DEP_1)
	v_and_b32_e32 v49, 0xff, v49
	v_lshlrev_b32_e32 v62, 6, v49
	s_clause 0x1
	global_load_b128 v[58:61], v62, s[4:5] offset:1136
	global_load_b128 v[83:86], v62, s[4:5] offset:1120
	s_wait_loadcnt 0x1
	v_mul_f64_e32 v[52:53], v[54:55], v[60:61]
	s_delay_alu instid0(VALU_DEP_1) | instskip(SKIP_1) | instid1(VALU_DEP_1)
	v_fma_f64 v[95:96], v[50:51], v[58:59], -v[52:53]
	v_mul_f64_e32 v[50:51], v[50:51], v[60:61]
	v_fma_f64 v[87:88], v[54:55], v[58:59], v[50:51]
	ds_load_2addr_b64 v[50:53], v249 offset0:59 offset1:114
	s_clause 0x1
	global_load_b128 v[58:61], v62, s[4:5] offset:1168
	global_load_b128 v[130:133], v62, s[4:5] offset:1152
	s_wait_dscnt 0x0
	v_mul_f64_e32 v[54:55], v[50:51], v[106:107]
	s_delay_alu instid0(VALU_DEP_1) | instskip(SKIP_1) | instid1(VALU_DEP_1)
	v_fma_f64 v[134:135], v[44:45], v[104:105], -v[54:55]
	v_mul_f64_e32 v[44:45], v[44:45], v[106:107]
	v_fma_f64 v[124:125], v[50:51], v[104:105], v[44:45]
	s_wait_loadcnt 0x1
	v_mul_f64_e32 v[44:45], v[52:53], v[60:61]
	s_delay_alu instid0(VALU_DEP_1) | instskip(SKIP_1) | instid1(VALU_DEP_1)
	v_fma_f64 v[112:113], v[46:47], v[58:59], -v[44:45]
	v_mul_f64_e32 v[44:45], v[46:47], v[60:61]
	v_fma_f64 v[89:90], v[52:53], v[58:59], v[44:45]
	ds_load_2addr_b64 v[44:47], v97 offset0:111 offset1:166
	s_wait_dscnt 0x0
	v_mul_f64_e32 v[50:51], v[44:45], v[85:86]
	s_delay_alu instid0(VALU_DEP_1) | instskip(SKIP_1) | instid1(VALU_DEP_1)
	v_fma_f64 v[114:115], v[40:41], v[83:84], -v[50:51]
	v_mul_f64_e32 v[40:41], v[40:41], v[85:86]
	v_fma_f64 v[104:105], v[44:45], v[83:84], v[40:41]
	v_and_b32_e32 v40, 0xff, v255
	s_delay_alu instid0(VALU_DEP_1) | instskip(NEXT) | instid1(VALU_DEP_1)
	v_mul_lo_u16 v40, 0xd5, v40
	v_lshrrev_b16 v40, 14, v40
	s_delay_alu instid0(VALU_DEP_1) | instskip(NEXT) | instid1(VALU_DEP_1)
	v_mul_lo_u16 v40, 0x4d, v40
	v_sub_nc_u16 v40, v255, v40
	s_delay_alu instid0(VALU_DEP_1) | instskip(NEXT) | instid1(VALU_DEP_1)
	v_and_b32_e32 v40, 0xff, v40
	v_lshlrev_b32_e32 v54, 6, v40
	s_clause 0x1
	global_load_b128 v[50:53], v54, s[4:5] offset:1120
	global_load_b128 v[58:61], v54, s[4:5] offset:1136
	s_wait_loadcnt 0x1
	v_mul_f64_e32 v[44:45], v[46:47], v[52:53]
	s_delay_alu instid0(VALU_DEP_1) | instskip(SKIP_1) | instid1(VALU_DEP_1)
	v_fma_f64 v[136:137], v[42:43], v[50:51], -v[44:45]
	v_mul_f64_e32 v[41:42], v[42:43], v[52:53]
	v_fma_f64 v[128:129], v[46:47], v[50:51], v[41:42]
	ds_load_2addr_b64 v[41:44], v190 offset0:113 offset1:168
	s_clause 0x1
	global_load_b128 v[50:53], v54, s[4:5] offset:1152
	global_load_b128 v[195:198], v54, s[4:5] offset:1168
	s_wait_dscnt 0x0
	v_mul_f64_e32 v[45:46], v[41:42], v[132:133]
	s_delay_alu instid0(VALU_DEP_1) | instskip(SKIP_1) | instid1(VALU_DEP_1)
	v_fma_f64 v[154:155], v[36:37], v[130:131], -v[45:46]
	v_mul_f64_e32 v[36:37], v[36:37], v[132:133]
	v_fma_f64 v[148:149], v[41:42], v[130:131], v[36:37]
	s_wait_loadcnt 0x1
	v_mul_f64_e32 v[36:37], v[43:44], v[52:53]
	s_delay_alu instid0(VALU_DEP_1) | instskip(SKIP_1) | instid1(VALU_DEP_1)
	v_fma_f64 v[152:153], v[38:39], v[50:51], -v[36:37]
	v_mul_f64_e32 v[36:37], v[38:39], v[52:53]
	v_fma_f64 v[142:143], v[43:44], v[50:51], v[36:37]
	ds_load_2addr_b64 v[41:44], v218 offset0:75 offset1:130
	s_wait_dscnt 0x0
	v_mul_f64_e32 v[36:37], v[43:44], v[75:76]
	s_delay_alu instid0(VALU_DEP_1) | instskip(SKIP_1) | instid1(VALU_DEP_1)
	v_fma_f64 v[36:37], v[34:35], v[73:74], -v[36:37]
	v_mul_f64_e32 v[34:35], v[34:35], v[75:76]
	v_fma_f64 v[180:181], v[43:44], v[73:74], v[34:35]
	v_and_b32_e32 v34, 0xffff, v217
	s_delay_alu instid0(VALU_DEP_1) | instskip(NEXT) | instid1(VALU_DEP_1)
	v_mul_u32_u24_e32 v34, 0x1a99, v34
	v_lshrrev_b32_e32 v34, 19, v34
	s_delay_alu instid0(VALU_DEP_1) | instskip(NEXT) | instid1(VALU_DEP_1)
	v_mul_lo_u16 v34, 0x4d, v34
	v_sub_nc_u16 v34, v217, v34
	s_delay_alu instid0(VALU_DEP_1) | instskip(NEXT) | instid1(VALU_DEP_1)
	v_and_b32_e32 v34, 0xffff, v34
	v_lshlrev_b32_e32 v35, 6, v34
	s_clause 0x1
	global_load_b128 v[43:46], v35, s[4:5] offset:1120
	global_load_b128 v[50:53], v35, s[4:5] offset:1136
	ds_load_2addr_b64 v[70:73], v253 offset0:21 offset1:76
	v_lshl_add_u32 v215, v34, 3, 0
	s_delay_alu instid0(VALU_DEP_1) | instskip(SKIP_2) | instid1(VALU_DEP_1)
	v_add_nc_u32_e32 v216, 0x3000, v215
	s_wait_loadcnt 0x1
	v_mul_f64_e32 v[38:39], v[41:42], v[45:46]
	v_fma_f64 v[85:86], v[32:33], v[43:44], -v[38:39]
	v_mul_f64_e32 v[32:33], v[32:33], v[45:46]
	s_delay_alu instid0(VALU_DEP_1) | instskip(SKIP_1) | instid1(VALU_DEP_1)
	v_fma_f64 v[83:84], v[41:42], v[43:44], v[32:33]
	v_and_b32_e32 v32, 0xffff, v245
	v_mul_u32_u24_e32 v32, 0x1a99, v32
	s_delay_alu instid0(VALU_DEP_1) | instskip(NEXT) | instid1(VALU_DEP_1)
	v_lshrrev_b32_e32 v32, 19, v32
	v_mul_lo_u16 v33, 0x4d, v32
	s_delay_alu instid0(VALU_DEP_1) | instskip(NEXT) | instid1(VALU_DEP_1)
	v_sub_nc_u16 v33, v245, v33
	v_and_b32_e32 v33, 0xffff, v33
	s_delay_alu instid0(VALU_DEP_1)
	v_lshlrev_b32_e32 v47, 6, v33
	s_clause 0x1
	global_load_b128 v[41:44], v47, s[4:5] offset:1136
	global_load_b128 v[156:159], v47, s[4:5] offset:1120
	s_wait_loadcnt_dscnt 0x100
	v_mul_f64_e32 v[38:39], v[70:71], v[43:44]
	s_delay_alu instid0(VALU_DEP_1) | instskip(SKIP_1) | instid1(VALU_DEP_1)
	v_fma_f64 v[138:139], v[28:29], v[41:42], -v[38:39]
	v_mul_f64_e32 v[28:29], v[28:29], v[43:44]
	v_fma_f64 v[132:133], v[70:71], v[41:42], v[28:29]
	v_mul_f64_e32 v[28:29], v[72:73], v[52:53]
	ds_load_2addr_b64 v[41:44], v250 offset0:77 offset1:132
	v_fma_f64 v[106:107], v[30:31], v[50:51], -v[28:29]
	v_mul_f64_e32 v[28:29], v[30:31], v[52:53]
	s_delay_alu instid0(VALU_DEP_1) | instskip(SKIP_2) | instid1(VALU_DEP_1)
	v_fma_f64 v[91:92], v[72:73], v[50:51], v[28:29]
	s_wait_dscnt 0x0
	v_mul_f64_e32 v[28:29], v[43:44], v[120:121]
	v_fma_f64 v[28:29], v[22:23], v[118:119], -v[28:29]
	v_mul_f64_e32 v[22:23], v[22:23], v[120:121]
	s_delay_alu instid0(VALU_DEP_1)
	v_fma_f64 v[186:187], v[43:44], v[118:119], v[22:23]
	s_clause 0x1
	global_load_b128 v[43:46], v35, s[4:5] offset:1152
	global_load_b128 v[50:53], v35, s[4:5] offset:1168
	s_wait_loadcnt 0x1
	v_mul_f64_e32 v[22:23], v[41:42], v[45:46]
	s_delay_alu instid0(VALU_DEP_1) | instskip(SKIP_1) | instid1(VALU_DEP_1)
	v_fma_f64 v[118:119], v[20:21], v[43:44], -v[22:23]
	v_mul_f64_e32 v[20:21], v[20:21], v[45:46]
	v_fma_f64 v[110:111], v[41:42], v[43:44], v[20:21]
	s_clause 0x1
	global_load_b128 v[20:23], v47, s[4:5] offset:1168
	global_load_b128 v[41:44], v47, s[4:5] offset:1152
	ds_load_2addr_b64 v[70:73], v193 offset0:23 offset1:78
	s_wait_loadcnt_dscnt 0x100
	v_mul_f64_e32 v[30:31], v[70:71], v[22:23]
	v_mul_f64_e32 v[22:23], v[24:25], v[22:23]
	s_delay_alu instid0(VALU_DEP_2) | instskip(NEXT) | instid1(VALU_DEP_2)
	v_fma_f64 v[146:147], v[24:25], v[20:21], -v[30:31]
	v_fma_f64 v[140:141], v[70:71], v[20:21], v[22:23]
	v_mul_f64_e32 v[20:21], v[72:73], v[52:53]
	s_delay_alu instid0(VALU_DEP_1) | instskip(SKIP_1) | instid1(VALU_DEP_1)
	v_fma_f64 v[130:131], v[26:27], v[50:51], -v[20:21]
	v_mul_f64_e32 v[20:21], v[26:27], v[52:53]
	v_fma_f64 v[120:121], v[72:73], v[50:51], v[20:21]
	ds_load_2addr_b64 v[20:23], v191 offset0:93 offset1:148
	s_wait_dscnt 0x0
	v_mul_f64_e32 v[24:25], v[22:23], v[158:159]
	s_delay_alu instid0(VALU_DEP_1) | instskip(SKIP_1) | instid1(VALU_DEP_1)
	v_fma_f64 v[150:151], v[18:19], v[156:157], -v[24:25]
	v_mul_f64_e32 v[18:19], v[18:19], v[158:159]
	v_fma_f64 v[144:145], v[22:23], v[156:157], v[18:19]
	v_and_b32_e32 v18, 0xffff, v219
	s_delay_alu instid0(VALU_DEP_1) | instskip(NEXT) | instid1(VALU_DEP_1)
	v_mul_u32_u24_e32 v18, 0x1a99, v18
	v_lshrrev_b32_e32 v18, 19, v18
	s_delay_alu instid0(VALU_DEP_1) | instskip(NEXT) | instid1(VALU_DEP_1)
	v_mul_lo_u16 v19, 0x4d, v18
	v_sub_nc_u16 v19, v219, v19
	s_delay_alu instid0(VALU_DEP_1) | instskip(NEXT) | instid1(VALU_DEP_1)
	v_and_b32_e32 v19, 0xffff, v19
	v_lshlrev_b32_e32 v30, 6, v19
	s_clause 0x1
	global_load_b128 v[22:25], v30, s[4:5] offset:1120
	global_load_b128 v[50:53], v30, s[4:5] offset:1136
	s_wait_loadcnt 0x1
	v_mul_f64_e32 v[26:27], v[20:21], v[24:25]
	s_delay_alu instid0(VALU_DEP_1) | instskip(SKIP_1) | instid1(VALU_DEP_1)
	v_fma_f64 v[164:165], v[16:17], v[22:23], -v[26:27]
	v_mul_f64_e32 v[16:17], v[16:17], v[24:25]
	v_fma_f64 v[160:161], v[20:21], v[22:23], v[16:17]
	ds_load_2addr_b64 v[20:23], v247 offset0:167 offset1:222
	s_wait_dscnt 0x0
	v_mul_f64_e32 v[16:17], v[20:21], v[60:61]
	s_delay_alu instid0(VALU_DEP_1) | instskip(SKIP_1) | instid1(VALU_DEP_1)
	v_fma_f64 v[178:179], v[12:13], v[58:59], -v[16:17]
	v_mul_f64_e32 v[12:13], v[12:13], v[60:61]
	v_fma_f64 v[172:173], v[20:21], v[58:59], v[12:13]
	s_wait_loadcnt 0x0
	v_mul_f64_e32 v[12:13], v[22:23], v[52:53]
	s_delay_alu instid0(VALU_DEP_1) | instskip(SKIP_1) | instid1(VALU_DEP_1)
	v_fma_f64 v[166:167], v[14:15], v[50:51], -v[12:13]
	v_mul_f64_e32 v[12:13], v[14:15], v[52:53]
	v_fma_f64 v[162:163], v[22:23], v[50:51], v[12:13]
	ds_load_2addr_b64 v[12:15], v192 offset0:95 offset1:150
	s_wait_dscnt 0x0
	v_mul_f64_e32 v[16:17], v[14:15], v[43:44]
	s_delay_alu instid0(VALU_DEP_1) | instskip(SKIP_1) | instid1(VALU_DEP_1)
	v_fma_f64 v[158:159], v[10:11], v[41:42], -v[16:17]
	v_mul_f64_e32 v[10:11], v[10:11], v[43:44]
	v_fma_f64 v[156:157], v[14:15], v[41:42], v[10:11]
	s_clause 0x1
	global_load_b128 v[14:17], v30, s[4:5] offset:1152
	global_load_b128 v[20:23], v30, s[4:5] offset:1168
	s_clause 0x1
	scratch_load_b32 v237, off, off
	scratch_load_b32 v238, off, off offset:4
	ds_load_b64 v[188:189], v235
	s_wait_loadcnt 0x3
	v_mul_f64_e32 v[10:11], v[12:13], v[16:17]
	s_wait_loadcnt 0x0
	ds_load_b64 v[199:200], v238
	v_fma_f64 v[174:175], v[8:9], v[14:15], -v[10:11]
	v_mul_f64_e32 v[8:9], v[8:9], v[16:17]
	v_add_f64_e64 v[16:17], v[56:57], -v[28:29]
	s_delay_alu instid0(VALU_DEP_2) | instskip(SKIP_3) | instid1(VALU_DEP_1)
	v_fma_f64 v[168:169], v[12:13], v[14:15], v[8:9]
	ds_load_2addr_b64 v[8:11], v249 offset0:169 offset1:224
	s_wait_dscnt 0x0
	v_mul_f64_e32 v[12:13], v[8:9], v[197:198]
	v_fma_f64 v[184:185], v[4:5], v[195:196], -v[12:13]
	v_mul_f64_e32 v[4:5], v[4:5], v[197:198]
	ds_load_b64 v[197:198], v237
	v_add_f64_e64 v[12:13], v[180:181], -v[126:127]
	v_fma_f64 v[182:183], v[8:9], v[195:196], v[4:5]
	v_mul_f64_e32 v[4:5], v[10:11], v[22:23]
	v_add_f64_e32 v[8:9], v[36:37], v[56:57]
	ds_load_b64 v[195:196], v254
	ds_load_b64 v[201:202], v234
	ds_load_2addr_b64 v[60:63], v194 offset0:19 offset1:74
	global_wb scope:SCOPE_SE
	s_wait_dscnt 0x0
	s_barrier_signal -1
	s_barrier_wait -1
	global_inv scope:SCOPE_SE
	v_fma_f64 v[176:177], v[6:7], v[20:21], -v[4:5]
	v_mul_f64_e32 v[4:5], v[6:7], v[22:23]
	v_add_f64_e64 v[6:7], v[28:29], -v[56:57]
	v_fma_f64 v[8:9], v[8:9], -0.5, v[212:213]
	s_delay_alu instid0(VALU_DEP_3) | instskip(SKIP_2) | instid1(VALU_DEP_2)
	v_fma_f64 v[170:171], v[10:11], v[20:21], v[4:5]
	v_add_f64_e64 v[4:5], v[67:68], -v[36:37]
	v_add_f64_e64 v[10:11], v[81:82], -v[186:187]
	v_add_f64_e32 v[4:5], v[4:5], v[6:7]
	v_add_f64_e32 v[6:7], v[212:213], v[67:68]
	s_delay_alu instid0(VALU_DEP_3) | instskip(NEXT) | instid1(VALU_DEP_2)
	v_fma_f64 v[14:15], v[10:11], s[12:13], v[8:9]
	v_add_f64_e32 v[6:7], v[6:7], v[36:37]
	s_delay_alu instid0(VALU_DEP_2) | instskip(NEXT) | instid1(VALU_DEP_2)
	v_fma_f64 v[14:15], v[12:13], s[6:7], v[14:15]
	v_add_f64_e32 v[6:7], v[6:7], v[56:57]
	s_delay_alu instid0(VALU_DEP_2) | instskip(NEXT) | instid1(VALU_DEP_2)
	v_fma_f64 v[14:15], v[4:5], s[2:3], v[14:15]
	v_add_f64_e32 v[6:7], v[6:7], v[28:29]
	ds_store_2addr_b64 v254, v[6:7], v[14:15] offset1:77
	v_add_f64_e32 v[6:7], v[67:68], v[28:29]
	v_add_f64_e64 v[14:15], v[36:37], -v[67:68]
	s_delay_alu instid0(VALU_DEP_2) | instskip(NEXT) | instid1(VALU_DEP_2)
	v_fma_f64 v[6:7], v[6:7], -0.5, v[212:213]
	v_add_f64_e32 v[14:15], v[14:15], v[16:17]
	s_wait_alu 0xfffe
	s_delay_alu instid0(VALU_DEP_2) | instskip(SKIP_1) | instid1(VALU_DEP_2)
	v_fma_f64 v[16:17], v[12:13], s[16:17], v[6:7]
	v_fma_f64 v[6:7], v[12:13], s[12:13], v[6:7]
	;; [unrolled: 1-line block ×3, first 2 shown]
	s_delay_alu instid0(VALU_DEP_2) | instskip(NEXT) | instid1(VALU_DEP_2)
	v_fma_f64 v[6:7], v[10:11], s[14:15], v[6:7]
	v_fma_f64 v[16:17], v[14:15], s[2:3], v[16:17]
	s_delay_alu instid0(VALU_DEP_2)
	v_fma_f64 v[6:7], v[14:15], s[2:3], v[6:7]
	ds_store_2addr_b64 v254, v[16:17], v[6:7] offset0:154 offset1:231
	v_fma_f64 v[6:7], v[10:11], s[16:17], v[8:9]
	v_add_f64_e64 v[8:9], v[134:135], -v[116:117]
	v_add_f64_e64 v[10:11], v[77:78], -v[124:125]
	;; [unrolled: 1-line block ×3, first 2 shown]
	s_delay_alu instid0(VALU_DEP_4) | instskip(SKIP_1) | instid1(VALU_DEP_2)
	v_fma_f64 v[6:7], v[12:13], s[14:15], v[6:7]
	v_add_f64_e64 v[12:13], v[108:109], -v[93:94]
	v_fma_f64 v[4:5], v[4:5], s[2:3], v[6:7]
	v_add_f64_e64 v[6:7], v[79:80], -v[122:123]
	ds_store_b64 v254, v[4:5] offset:2464
	v_add_f64_e32 v[6:7], v[6:7], v[8:9]
	v_add_f64_e32 v[8:9], v[122:123], v[116:117]
	v_lshlrev_b32_e32 v4, 3, v69
	s_wait_alu 0xf1ff
	v_cndmask_b32_e64 v5, 0, 0xc08, s0
	s_delay_alu instid0(VALU_DEP_1) | instskip(SKIP_2) | instid1(VALU_DEP_2)
	v_add3_u32 v209, 0, v5, v4
	v_add_f64_e32 v[4:5], v[210:211], v[79:80]
	v_fma_f64 v[8:9], v[8:9], -0.5, v[210:211]
	v_add_f64_e32 v[4:5], v[4:5], v[122:123]
	s_delay_alu instid0(VALU_DEP_2) | instskip(NEXT) | instid1(VALU_DEP_2)
	v_fma_f64 v[14:15], v[10:11], s[12:13], v[8:9]
	v_add_f64_e32 v[4:5], v[4:5], v[116:117]
	s_delay_alu instid0(VALU_DEP_2) | instskip(NEXT) | instid1(VALU_DEP_2)
	v_fma_f64 v[14:15], v[12:13], s[6:7], v[14:15]
	v_add_f64_e32 v[4:5], v[4:5], v[134:135]
	s_delay_alu instid0(VALU_DEP_2) | instskip(SKIP_4) | instid1(VALU_DEP_3)
	v_fma_f64 v[14:15], v[6:7], s[2:3], v[14:15]
	ds_store_2addr_b64 v209, v[4:5], v[14:15] offset1:77
	v_add_f64_e32 v[4:5], v[79:80], v[134:135]
	v_add_f64_e64 v[14:15], v[122:123], -v[79:80]
	v_add_f64_e64 v[79:80], v[79:80], -v[134:135]
	v_fma_f64 v[4:5], v[4:5], -0.5, v[210:211]
	s_delay_alu instid0(VALU_DEP_3) | instskip(SKIP_1) | instid1(VALU_DEP_1)
	v_add_f64_e32 v[14:15], v[14:15], v[16:17]
	v_lshl_add_u32 v211, v40, 3, 0
	v_add_nc_u32_e32 v212, 0x1800, v211
	s_delay_alu instid0(VALU_DEP_4) | instskip(SKIP_1) | instid1(VALU_DEP_2)
	v_fma_f64 v[16:17], v[12:13], s[16:17], v[4:5]
	v_fma_f64 v[4:5], v[12:13], s[12:13], v[4:5]
	;; [unrolled: 1-line block ×3, first 2 shown]
	s_delay_alu instid0(VALU_DEP_2) | instskip(NEXT) | instid1(VALU_DEP_2)
	v_fma_f64 v[4:5], v[10:11], s[14:15], v[4:5]
	v_fma_f64 v[16:17], v[14:15], s[2:3], v[16:17]
	s_delay_alu instid0(VALU_DEP_2)
	v_fma_f64 v[4:5], v[14:15], s[2:3], v[4:5]
	ds_store_2addr_b64 v209, v[16:17], v[4:5] offset0:154 offset1:231
	v_fma_f64 v[4:5], v[10:11], s[16:17], v[8:9]
	v_add_f64_e64 v[8:9], v[112:113], -v[154:155]
	v_add_f64_e64 v[10:11], v[104:105], -v[89:90]
	;; [unrolled: 1-line block ×3, first 2 shown]
	s_delay_alu instid0(VALU_DEP_4) | instskip(SKIP_1) | instid1(VALU_DEP_2)
	v_fma_f64 v[4:5], v[12:13], s[14:15], v[4:5]
	v_add_f64_e64 v[12:13], v[87:88], -v[148:149]
	v_fma_f64 v[4:5], v[6:7], s[2:3], v[4:5]
	v_add_f64_e64 v[6:7], v[114:115], -v[95:96]
	ds_store_b64 v209, v[4:5] offset:2464
	v_add_f64_e32 v[6:7], v[6:7], v[8:9]
	v_add_f64_e32 v[8:9], v[95:96], v[154:155]
	v_and_b32_e32 v4, 0xffff, v48
	v_lshlrev_b32_e32 v5, 3, v49
	s_delay_alu instid0(VALU_DEP_2) | instskip(NEXT) | instid1(VALU_DEP_1)
	v_mul_u32_u24_e32 v4, 0xc08, v4
	v_add3_u32 v210, 0, v4, v5
	v_add_f64_e32 v[4:5], v[102:103], v[114:115]
	v_fma_f64 v[8:9], v[8:9], -0.5, v[102:103]
	s_delay_alu instid0(VALU_DEP_2) | instskip(NEXT) | instid1(VALU_DEP_2)
	v_add_f64_e32 v[4:5], v[4:5], v[95:96]
	v_fma_f64 v[14:15], v[10:11], s[12:13], v[8:9]
	s_delay_alu instid0(VALU_DEP_2) | instskip(NEXT) | instid1(VALU_DEP_2)
	v_add_f64_e32 v[4:5], v[4:5], v[154:155]
	v_fma_f64 v[14:15], v[12:13], s[6:7], v[14:15]
	;; [unrolled: 3-line block ×3, first 2 shown]
	ds_store_2addr_b64 v210, v[4:5], v[14:15] offset1:77
	v_add_f64_e32 v[4:5], v[114:115], v[112:113]
	v_add_f64_e64 v[14:15], v[95:96], -v[114:115]
	s_delay_alu instid0(VALU_DEP_2) | instskip(NEXT) | instid1(VALU_DEP_2)
	v_fma_f64 v[4:5], v[4:5], -0.5, v[102:103]
	v_add_f64_e32 v[14:15], v[14:15], v[16:17]
	s_delay_alu instid0(VALU_DEP_2) | instskip(SKIP_1) | instid1(VALU_DEP_2)
	v_fma_f64 v[16:17], v[12:13], s[16:17], v[4:5]
	v_fma_f64 v[4:5], v[12:13], s[12:13], v[4:5]
	v_fma_f64 v[16:17], v[10:11], s[6:7], v[16:17]
	s_delay_alu instid0(VALU_DEP_2) | instskip(NEXT) | instid1(VALU_DEP_2)
	v_fma_f64 v[4:5], v[10:11], s[14:15], v[4:5]
	v_fma_f64 v[16:17], v[14:15], s[2:3], v[16:17]
	s_delay_alu instid0(VALU_DEP_2)
	v_fma_f64 v[4:5], v[14:15], s[2:3], v[4:5]
	ds_store_2addr_b64 v210, v[16:17], v[4:5] offset0:154 offset1:231
	v_fma_f64 v[4:5], v[10:11], s[16:17], v[8:9]
	v_add_f64_e64 v[8:9], v[184:185], -v[152:153]
	v_add_f64_e64 v[10:11], v[128:129], -v[182:183]
	;; [unrolled: 1-line block ×3, first 2 shown]
	s_delay_alu instid0(VALU_DEP_4) | instskip(SKIP_1) | instid1(VALU_DEP_2)
	v_fma_f64 v[4:5], v[12:13], s[14:15], v[4:5]
	v_add_f64_e64 v[12:13], v[172:173], -v[142:143]
	v_fma_f64 v[4:5], v[6:7], s[2:3], v[4:5]
	v_add_f64_e64 v[6:7], v[136:137], -v[178:179]
	ds_store_b64 v210, v[4:5] offset:2464
	v_add_f64_e32 v[6:7], v[6:7], v[8:9]
	v_add_f64_e32 v[8:9], v[178:179], v[152:153]
	v_add_f64_e32 v[4:5], v[100:101], v[136:137]
	s_delay_alu instid0(VALU_DEP_2) | instskip(NEXT) | instid1(VALU_DEP_2)
	v_fma_f64 v[8:9], v[8:9], -0.5, v[100:101]
	v_add_f64_e32 v[4:5], v[4:5], v[178:179]
	s_delay_alu instid0(VALU_DEP_2) | instskip(NEXT) | instid1(VALU_DEP_2)
	v_fma_f64 v[14:15], v[10:11], s[12:13], v[8:9]
	v_add_f64_e32 v[4:5], v[4:5], v[152:153]
	s_delay_alu instid0(VALU_DEP_2) | instskip(NEXT) | instid1(VALU_DEP_2)
	v_fma_f64 v[14:15], v[12:13], s[6:7], v[14:15]
	v_add_f64_e32 v[4:5], v[4:5], v[184:185]
	s_delay_alu instid0(VALU_DEP_2) | instskip(SKIP_3) | instid1(VALU_DEP_2)
	v_fma_f64 v[14:15], v[6:7], s[2:3], v[14:15]
	ds_store_2addr_b64 v212, v[4:5], v[14:15] offset0:2 offset1:79
	v_add_f64_e32 v[4:5], v[136:137], v[184:185]
	v_add_f64_e64 v[14:15], v[178:179], -v[136:137]
	v_fma_f64 v[4:5], v[4:5], -0.5, v[100:101]
	s_delay_alu instid0(VALU_DEP_2) | instskip(SKIP_1) | instid1(VALU_DEP_3)
	v_add_f64_e32 v[14:15], v[14:15], v[16:17]
	v_add_f64_e64 v[100:101], v[67:68], -v[28:29]
	v_fma_f64 v[16:17], v[12:13], s[16:17], v[4:5]
	v_fma_f64 v[4:5], v[12:13], s[12:13], v[4:5]
	s_delay_alu instid0(VALU_DEP_2) | instskip(NEXT) | instid1(VALU_DEP_2)
	v_fma_f64 v[16:17], v[10:11], s[6:7], v[16:17]
	v_fma_f64 v[4:5], v[10:11], s[14:15], v[4:5]
	s_delay_alu instid0(VALU_DEP_2) | instskip(NEXT) | instid1(VALU_DEP_2)
	v_fma_f64 v[16:17], v[14:15], s[2:3], v[16:17]
	v_fma_f64 v[4:5], v[14:15], s[2:3], v[4:5]
	ds_store_2addr_b64 v212, v[16:17], v[4:5] offset0:156 offset1:233
	v_fma_f64 v[4:5], v[10:11], s[16:17], v[8:9]
	v_add_f64_e64 v[8:9], v[176:177], -v[174:175]
	v_add_f64_e64 v[10:11], v[160:161], -v[170:171]
	;; [unrolled: 1-line block ×3, first 2 shown]
	s_delay_alu instid0(VALU_DEP_4) | instskip(SKIP_1) | instid1(VALU_DEP_2)
	v_fma_f64 v[4:5], v[12:13], s[14:15], v[4:5]
	v_add_f64_e64 v[12:13], v[162:163], -v[168:169]
	v_fma_f64 v[4:5], v[6:7], s[2:3], v[4:5]
	v_add_f64_e64 v[6:7], v[164:165], -v[166:167]
	ds_store_b64 v211, v[4:5] offset:8624
	v_add_f64_e32 v[6:7], v[6:7], v[8:9]
	v_add_f64_e32 v[8:9], v[166:167], v[174:175]
	v_mul_u32_u24_e32 v4, 0xc08, v18
	v_lshlrev_b32_e32 v5, 3, v19
	s_delay_alu instid0(VALU_DEP_1) | instskip(SKIP_2) | instid1(VALU_DEP_2)
	v_add3_u32 v213, 0, v4, v5
	v_add_f64_e32 v[4:5], v[98:99], v[164:165]
	v_fma_f64 v[8:9], v[8:9], -0.5, v[98:99]
	v_add_f64_e32 v[4:5], v[4:5], v[166:167]
	s_delay_alu instid0(VALU_DEP_2) | instskip(NEXT) | instid1(VALU_DEP_2)
	v_fma_f64 v[14:15], v[10:11], s[12:13], v[8:9]
	v_add_f64_e32 v[4:5], v[4:5], v[174:175]
	s_delay_alu instid0(VALU_DEP_2) | instskip(NEXT) | instid1(VALU_DEP_2)
	v_fma_f64 v[14:15], v[12:13], s[6:7], v[14:15]
	v_add_f64_e32 v[4:5], v[4:5], v[176:177]
	s_delay_alu instid0(VALU_DEP_2) | instskip(SKIP_3) | instid1(VALU_DEP_2)
	v_fma_f64 v[14:15], v[6:7], s[2:3], v[14:15]
	ds_store_2addr_b64 v213, v[4:5], v[14:15] offset1:77
	v_add_f64_e32 v[4:5], v[164:165], v[176:177]
	v_add_f64_e64 v[14:15], v[166:167], -v[164:165]
	v_fma_f64 v[4:5], v[4:5], -0.5, v[98:99]
	s_delay_alu instid0(VALU_DEP_2) | instskip(SKIP_1) | instid1(VALU_DEP_3)
	v_add_f64_e32 v[14:15], v[14:15], v[16:17]
	v_add_f64_e64 v[98:99], v[36:37], -v[56:57]
	v_fma_f64 v[16:17], v[12:13], s[16:17], v[4:5]
	v_fma_f64 v[4:5], v[12:13], s[12:13], v[4:5]
	s_delay_alu instid0(VALU_DEP_2) | instskip(NEXT) | instid1(VALU_DEP_2)
	v_fma_f64 v[16:17], v[10:11], s[6:7], v[16:17]
	v_fma_f64 v[4:5], v[10:11], s[14:15], v[4:5]
	s_delay_alu instid0(VALU_DEP_2) | instskip(NEXT) | instid1(VALU_DEP_2)
	v_fma_f64 v[16:17], v[14:15], s[2:3], v[16:17]
	v_fma_f64 v[4:5], v[14:15], s[2:3], v[4:5]
	ds_store_2addr_b64 v213, v[16:17], v[4:5] offset0:154 offset1:231
	v_fma_f64 v[4:5], v[10:11], s[16:17], v[8:9]
	v_add_f64_e64 v[8:9], v[146:147], -v[158:159]
	v_add_f64_e64 v[10:11], v[144:145], -v[140:141]
	s_delay_alu instid0(VALU_DEP_3) | instskip(SKIP_1) | instid1(VALU_DEP_2)
	v_fma_f64 v[4:5], v[12:13], s[14:15], v[4:5]
	v_add_f64_e64 v[12:13], v[132:133], -v[156:157]
	v_fma_f64 v[4:5], v[6:7], s[2:3], v[4:5]
	v_add_f64_e64 v[6:7], v[150:151], -v[138:139]
	ds_store_b64 v213, v[4:5] offset:2464
	v_add_f64_e32 v[6:7], v[6:7], v[8:9]
	v_add_f64_e32 v[8:9], v[138:139], v[158:159]
	v_mul_u32_u24_e32 v4, 0xc08, v32
	v_lshlrev_b32_e32 v5, 3, v33
	s_delay_alu instid0(VALU_DEP_1) | instskip(SKIP_2) | instid1(VALU_DEP_2)
	v_add3_u32 v214, 0, v4, v5
	v_add_f64_e32 v[4:5], v[0:1], v[150:151]
	v_fma_f64 v[8:9], v[8:9], -0.5, v[0:1]
	v_add_f64_e32 v[4:5], v[4:5], v[138:139]
	s_delay_alu instid0(VALU_DEP_2) | instskip(NEXT) | instid1(VALU_DEP_2)
	v_fma_f64 v[14:15], v[10:11], s[12:13], v[8:9]
	v_add_f64_e32 v[4:5], v[4:5], v[158:159]
	s_delay_alu instid0(VALU_DEP_2) | instskip(NEXT) | instid1(VALU_DEP_2)
	v_fma_f64 v[14:15], v[12:13], s[6:7], v[14:15]
	v_add_f64_e32 v[4:5], v[4:5], v[146:147]
	s_delay_alu instid0(VALU_DEP_2) | instskip(SKIP_3) | instid1(VALU_DEP_1)
	v_fma_f64 v[14:15], v[6:7], s[2:3], v[14:15]
	ds_store_2addr_b64 v214, v[4:5], v[14:15] offset1:77
	v_add_f64_e64 v[4:5], v[138:139], -v[150:151]
	v_add_f64_e64 v[14:15], v[158:159], -v[146:147]
	v_add_f64_e32 v[4:5], v[4:5], v[14:15]
	v_add_f64_e32 v[14:15], v[150:151], v[146:147]
	s_delay_alu instid0(VALU_DEP_1) | instskip(NEXT) | instid1(VALU_DEP_1)
	v_fma_f64 v[0:1], v[14:15], -0.5, v[0:1]
	v_fma_f64 v[14:15], v[12:13], s[16:17], v[0:1]
	v_fma_f64 v[0:1], v[12:13], s[12:13], v[0:1]
	s_delay_alu instid0(VALU_DEP_2) | instskip(NEXT) | instid1(VALU_DEP_2)
	v_fma_f64 v[14:15], v[10:11], s[6:7], v[14:15]
	v_fma_f64 v[0:1], v[10:11], s[14:15], v[0:1]
	s_delay_alu instid0(VALU_DEP_2) | instskip(NEXT) | instid1(VALU_DEP_2)
	v_fma_f64 v[14:15], v[4:5], s[2:3], v[14:15]
	v_fma_f64 v[0:1], v[4:5], s[2:3], v[0:1]
	v_add_f64_e32 v[4:5], v[106:107], v[118:119]
	ds_store_2addr_b64 v214, v[14:15], v[0:1] offset0:154 offset1:231
	v_fma_f64 v[0:1], v[10:11], s[16:17], v[8:9]
	v_add_f64_e32 v[8:9], v[85:86], v[130:131]
	v_fma_f64 v[4:5], v[4:5], -0.5, v[2:3]
	v_add_f64_e64 v[10:11], v[130:131], -v[118:119]
	s_delay_alu instid0(VALU_DEP_4) | instskip(NEXT) | instid1(VALU_DEP_4)
	v_fma_f64 v[0:1], v[12:13], s[14:15], v[0:1]
	v_fma_f64 v[8:9], v[8:9], -0.5, v[2:3]
	v_add_f64_e32 v[2:3], v[2:3], v[85:86]
	s_delay_alu instid0(VALU_DEP_3)
	v_fma_f64 v[0:1], v[6:7], s[2:3], v[0:1]
	v_add_f64_e64 v[6:7], v[85:86], -v[106:107]
	ds_store_b64 v214, v[0:1] offset:2464
	v_add_f64_e32 v[0:1], v[2:3], v[106:107]
	v_add_f64_e64 v[2:3], v[83:84], -v[120:121]
	v_add_f64_e32 v[6:7], v[6:7], v[10:11]
	v_add_f64_e64 v[10:11], v[91:92], -v[110:111]
	s_delay_alu instid0(VALU_DEP_4) | instskip(NEXT) | instid1(VALU_DEP_4)
	v_add_f64_e32 v[0:1], v[0:1], v[118:119]
	v_fma_f64 v[12:13], v[2:3], s[12:13], v[4:5]
	s_delay_alu instid0(VALU_DEP_2) | instskip(NEXT) | instid1(VALU_DEP_2)
	v_add_f64_e32 v[0:1], v[0:1], v[130:131]
	v_fma_f64 v[12:13], v[10:11], s[6:7], v[12:13]
	s_delay_alu instid0(VALU_DEP_1) | instskip(SKIP_4) | instid1(VALU_DEP_2)
	v_fma_f64 v[12:13], v[6:7], s[2:3], v[12:13]
	ds_store_2addr_b64 v216, v[0:1], v[12:13] offset0:4 offset1:81
	v_add_f64_e64 v[0:1], v[106:107], -v[85:86]
	v_add_f64_e64 v[12:13], v[118:119], -v[130:131]
	;; [unrolled: 1-line block ×3, first 2 shown]
	v_add_f64_e32 v[0:1], v[0:1], v[12:13]
	v_fma_f64 v[12:13], v[10:11], s[16:17], v[8:9]
	v_fma_f64 v[8:9], v[10:11], s[12:13], v[8:9]
	s_delay_alu instid0(VALU_DEP_2) | instskip(NEXT) | instid1(VALU_DEP_2)
	v_fma_f64 v[12:13], v[2:3], s[6:7], v[12:13]
	v_fma_f64 v[8:9], v[2:3], s[14:15], v[8:9]
	s_delay_alu instid0(VALU_DEP_2) | instskip(NEXT) | instid1(VALU_DEP_2)
	v_fma_f64 v[12:13], v[0:1], s[2:3], v[12:13]
	v_fma_f64 v[0:1], v[0:1], s[2:3], v[8:9]
	ds_store_2addr_b64 v216, v[12:13], v[0:1] offset0:158 offset1:235
	v_fma_f64 v[0:1], v[2:3], s[16:17], v[4:5]
	v_add_f64_e64 v[2:3], v[81:82], -v[180:181]
	v_add_f64_e64 v[4:5], v[186:187], -v[126:127]
	s_delay_alu instid0(VALU_DEP_3) | instskip(NEXT) | instid1(VALU_DEP_2)
	v_fma_f64 v[0:1], v[10:11], s[14:15], v[0:1]
	v_add_f64_e32 v[102:103], v[2:3], v[4:5]
	v_add_f64_e32 v[2:3], v[180:181], v[126:127]
	s_delay_alu instid0(VALU_DEP_3) | instskip(NEXT) | instid1(VALU_DEP_2)
	v_fma_f64 v[0:1], v[6:7], s[2:3], v[0:1]
	v_fma_f64 v[203:204], v[2:3], -0.5, v[195:196]
	ds_store_b64 v215, v[0:1] offset:14784
	v_add_f64_e32 v[0:1], v[195:196], v[81:82]
	global_wb scope:SCOPE_SE
	s_wait_dscnt 0x0
	v_fma_f64 v[2:3], v[100:101], s[16:17], v[203:204]
	s_barrier_signal -1
	s_barrier_wait -1
	global_inv scope:SCOPE_SE
	v_add_f64_e32 v[0:1], v[0:1], v[180:181]
	v_add_f64_e64 v[180:181], v[180:181], -v[81:82]
	v_add_f64_e32 v[81:82], v[81:82], v[186:187]
	v_fma_f64 v[2:3], v[98:99], s[14:15], v[2:3]
	s_delay_alu instid0(VALU_DEP_4) | instskip(SKIP_1) | instid1(VALU_DEP_4)
	v_add_f64_e32 v[0:1], v[0:1], v[126:127]
	v_add_f64_e64 v[126:127], v[126:127], -v[186:187]
	v_fma_f64 v[81:82], v[81:82], -0.5, v[195:196]
	s_delay_alu instid0(VALU_DEP_4) | instskip(NEXT) | instid1(VALU_DEP_4)
	v_fma_f64 v[207:208], v[102:103], s[2:3], v[2:3]
	v_add_f64_e32 v[205:206], v[0:1], v[186:187]
	s_delay_alu instid0(VALU_DEP_4) | instskip(NEXT) | instid1(VALU_DEP_4)
	v_add_f64_e32 v[126:127], v[180:181], v[126:127]
	v_fma_f64 v[180:181], v[98:99], s[12:13], v[81:82]
	v_fma_f64 v[81:82], v[98:99], s[16:17], v[81:82]
	ds_load_b64 v[75:76], v254
	ds_load_b64 v[71:72], v234
	;; [unrolled: 1-line block ×5, first 2 shown]
	ds_load_2addr_b64 v[4:7], v251 offset0:129 offset1:184
	ds_load_2addr_b64 v[56:59], v218 offset0:75 offset1:130
	;; [unrolled: 1-line block ×15, first 2 shown]
	global_wb scope:SCOPE_SE
	s_wait_dscnt 0x0
	s_barrier_signal -1
	s_barrier_wait -1
	global_inv scope:SCOPE_SE
	ds_store_2addr_b64 v254, v[205:206], v[207:208] offset1:77
	v_fma_f64 v[180:181], v[100:101], s[14:15], v[180:181]
	v_fma_f64 v[81:82], v[100:101], s[6:7], v[81:82]
	s_delay_alu instid0(VALU_DEP_2) | instskip(NEXT) | instid1(VALU_DEP_2)
	v_fma_f64 v[180:181], v[126:127], s[2:3], v[180:181]
	v_fma_f64 v[81:82], v[126:127], s[2:3], v[81:82]
	ds_store_2addr_b64 v254, v[180:181], v[81:82] offset0:154 offset1:231
	v_fma_f64 v[81:82], v[100:101], s[12:13], v[203:204]
	s_delay_alu instid0(VALU_DEP_1) | instskip(SKIP_2) | instid1(VALU_DEP_3)
	v_fma_f64 v[81:82], v[98:99], s[6:7], v[81:82]
	v_add_f64_e64 v[99:100], v[77:78], -v[108:109]
	v_add_f64_e64 v[97:98], v[122:123], -v[116:117]
	v_fma_f64 v[81:82], v[102:103], s[2:3], v[81:82]
	v_add_f64_e64 v[101:102], v[124:125], -v[93:94]
	ds_store_b64 v254, v[81:82] offset:2464
	v_add_f64_e32 v[99:100], v[99:100], v[101:102]
	v_add_f64_e32 v[101:102], v[108:109], v[93:94]
	;; [unrolled: 1-line block ×3, first 2 shown]
	s_delay_alu instid0(VALU_DEP_2) | instskip(NEXT) | instid1(VALU_DEP_2)
	v_fma_f64 v[101:102], v[101:102], -0.5, v[197:198]
	v_add_f64_e32 v[81:82], v[81:82], v[108:109]
	s_delay_alu instid0(VALU_DEP_2) | instskip(NEXT) | instid1(VALU_DEP_2)
	v_fma_f64 v[116:117], v[79:80], s[16:17], v[101:102]
	v_add_f64_e32 v[81:82], v[81:82], v[93:94]
	v_add_f64_e64 v[93:94], v[93:94], -v[124:125]
	s_delay_alu instid0(VALU_DEP_3) | instskip(NEXT) | instid1(VALU_DEP_3)
	v_fma_f64 v[116:117], v[97:98], s[14:15], v[116:117]
	v_add_f64_e32 v[81:82], v[81:82], v[124:125]
	s_delay_alu instid0(VALU_DEP_2) | instskip(SKIP_3) | instid1(VALU_DEP_2)
	v_fma_f64 v[116:117], v[99:100], s[2:3], v[116:117]
	ds_store_2addr_b64 v209, v[81:82], v[116:117] offset1:77
	v_add_f64_e64 v[81:82], v[108:109], -v[77:78]
	v_add_f64_e32 v[77:78], v[77:78], v[124:125]
	v_add_f64_e32 v[81:82], v[81:82], v[93:94]
	s_delay_alu instid0(VALU_DEP_2) | instskip(NEXT) | instid1(VALU_DEP_1)
	v_fma_f64 v[77:78], v[77:78], -0.5, v[197:198]
	v_fma_f64 v[93:94], v[97:98], s[12:13], v[77:78]
	v_fma_f64 v[77:78], v[97:98], s[16:17], v[77:78]
	s_delay_alu instid0(VALU_DEP_2) | instskip(NEXT) | instid1(VALU_DEP_2)
	v_fma_f64 v[93:94], v[79:80], s[14:15], v[93:94]
	v_fma_f64 v[77:78], v[79:80], s[6:7], v[77:78]
	s_delay_alu instid0(VALU_DEP_2) | instskip(NEXT) | instid1(VALU_DEP_2)
	v_fma_f64 v[93:94], v[81:82], s[2:3], v[93:94]
	v_fma_f64 v[77:78], v[81:82], s[2:3], v[77:78]
	v_add_f64_e64 v[81:82], v[104:105], -v[87:88]
	ds_store_2addr_b64 v209, v[93:94], v[77:78] offset0:154 offset1:231
	v_fma_f64 v[77:78], v[79:80], s[12:13], v[101:102]
	v_add_f64_e64 v[93:94], v[89:90], -v[148:149]
	v_add_f64_e64 v[79:80], v[114:115], -v[112:113]
	s_delay_alu instid0(VALU_DEP_3) | instskip(NEXT) | instid1(VALU_DEP_3)
	v_fma_f64 v[77:78], v[97:98], s[6:7], v[77:78]
	v_add_f64_e32 v[81:82], v[81:82], v[93:94]
	v_add_f64_e32 v[93:94], v[199:200], v[104:105]
	s_delay_alu instid0(VALU_DEP_3) | instskip(NEXT) | instid1(VALU_DEP_2)
	v_fma_f64 v[77:78], v[99:100], s[2:3], v[77:78]
	v_add_f64_e32 v[93:94], v[93:94], v[87:88]
	ds_store_b64 v209, v[77:78] offset:2464
	v_add_f64_e64 v[77:78], v[95:96], -v[154:155]
	v_add_f64_e32 v[95:96], v[87:88], v[148:149]
	v_add_f64_e32 v[93:94], v[93:94], v[148:149]
	v_add_f64_e64 v[87:88], v[87:88], -v[104:105]
	s_delay_alu instid0(VALU_DEP_3) | instskip(NEXT) | instid1(VALU_DEP_3)
	v_fma_f64 v[95:96], v[95:96], -0.5, v[199:200]
	v_add_f64_e32 v[93:94], v[93:94], v[89:90]
	s_delay_alu instid0(VALU_DEP_2) | instskip(NEXT) | instid1(VALU_DEP_1)
	v_fma_f64 v[97:98], v[79:80], s[16:17], v[95:96]
	v_fma_f64 v[97:98], v[77:78], s[14:15], v[97:98]
	s_delay_alu instid0(VALU_DEP_1) | instskip(SKIP_3) | instid1(VALU_DEP_2)
	v_fma_f64 v[97:98], v[81:82], s[2:3], v[97:98]
	ds_store_2addr_b64 v210, v[93:94], v[97:98] offset1:77
	v_add_f64_e32 v[93:94], v[104:105], v[89:90]
	v_add_f64_e64 v[89:90], v[148:149], -v[89:90]
	v_fma_f64 v[93:94], v[93:94], -0.5, v[199:200]
	s_delay_alu instid0(VALU_DEP_2) | instskip(NEXT) | instid1(VALU_DEP_2)
	v_add_f64_e32 v[87:88], v[87:88], v[89:90]
	v_fma_f64 v[89:90], v[77:78], s[12:13], v[93:94]
	v_fma_f64 v[93:94], v[77:78], s[16:17], v[93:94]
	s_delay_alu instid0(VALU_DEP_2) | instskip(NEXT) | instid1(VALU_DEP_2)
	v_fma_f64 v[89:90], v[79:80], s[14:15], v[89:90]
	v_fma_f64 v[93:94], v[79:80], s[6:7], v[93:94]
	;; [unrolled: 1-line block ×3, first 2 shown]
	v_add_f64_e64 v[95:96], v[142:143], -v[182:183]
	s_delay_alu instid0(VALU_DEP_4) | instskip(NEXT) | instid1(VALU_DEP_4)
	v_fma_f64 v[89:90], v[87:88], s[2:3], v[89:90]
	v_fma_f64 v[87:88], v[87:88], s[2:3], v[93:94]
	s_delay_alu instid0(VALU_DEP_4)
	v_fma_f64 v[77:78], v[77:78], s[6:7], v[79:80]
	v_add_f64_e64 v[79:80], v[136:137], -v[184:185]
	ds_store_2addr_b64 v210, v[89:90], v[87:88] offset0:154 offset1:231
	v_fma_f64 v[77:78], v[81:82], s[2:3], v[77:78]
	v_add_f64_e64 v[81:82], v[128:129], -v[172:173]
	v_add_f64_e64 v[87:88], v[182:183], -v[142:143]
	v_add_f64_e32 v[89:90], v[172:173], v[142:143]
	ds_store_b64 v210, v[77:78] offset:2464
	v_add_f64_e64 v[77:78], v[178:179], -v[152:153]
	v_add_f64_e32 v[81:82], v[81:82], v[87:88]
	v_add_f64_e32 v[87:88], v[201:202], v[128:129]
	v_fma_f64 v[89:90], v[89:90], -0.5, v[201:202]
	s_delay_alu instid0(VALU_DEP_2) | instskip(NEXT) | instid1(VALU_DEP_2)
	v_add_f64_e32 v[87:88], v[87:88], v[172:173]
	v_fma_f64 v[93:94], v[79:80], s[16:17], v[89:90]
	s_delay_alu instid0(VALU_DEP_2) | instskip(NEXT) | instid1(VALU_DEP_2)
	v_add_f64_e32 v[87:88], v[87:88], v[142:143]
	v_fma_f64 v[93:94], v[77:78], s[14:15], v[93:94]
	s_delay_alu instid0(VALU_DEP_2) | instskip(NEXT) | instid1(VALU_DEP_2)
	v_add_f64_e32 v[87:88], v[87:88], v[182:183]
	v_fma_f64 v[93:94], v[81:82], s[2:3], v[93:94]
	ds_store_2addr_b64 v212, v[87:88], v[93:94] offset0:2 offset1:79
	v_add_f64_e32 v[93:94], v[128:129], v[182:183]
	v_add_f64_e64 v[87:88], v[172:173], -v[128:129]
	s_delay_alu instid0(VALU_DEP_2) | instskip(NEXT) | instid1(VALU_DEP_2)
	v_fma_f64 v[93:94], v[93:94], -0.5, v[201:202]
	v_add_f64_e32 v[87:88], v[87:88], v[95:96]
	s_delay_alu instid0(VALU_DEP_2) | instskip(SKIP_1) | instid1(VALU_DEP_2)
	v_fma_f64 v[95:96], v[77:78], s[12:13], v[93:94]
	v_fma_f64 v[93:94], v[77:78], s[16:17], v[93:94]
	;; [unrolled: 1-line block ×3, first 2 shown]
	s_delay_alu instid0(VALU_DEP_2) | instskip(SKIP_2) | instid1(VALU_DEP_4)
	v_fma_f64 v[93:94], v[79:80], s[6:7], v[93:94]
	v_fma_f64 v[79:80], v[79:80], s[12:13], v[89:90]
	v_add_f64_e32 v[89:90], v[162:163], v[168:169]
	v_fma_f64 v[95:96], v[87:88], s[2:3], v[95:96]
	s_delay_alu instid0(VALU_DEP_4) | instskip(NEXT) | instid1(VALU_DEP_4)
	v_fma_f64 v[87:88], v[87:88], s[2:3], v[93:94]
	v_fma_f64 v[77:78], v[77:78], s[6:7], v[79:80]
	v_add_f64_e64 v[79:80], v[164:165], -v[176:177]
	v_fma_f64 v[89:90], v[89:90], -0.5, v[188:189]
	ds_store_2addr_b64 v212, v[95:96], v[87:88] offset0:156 offset1:233
	v_fma_f64 v[77:78], v[81:82], s[2:3], v[77:78]
	v_add_f64_e64 v[81:82], v[160:161], -v[162:163]
	v_add_f64_e64 v[87:88], v[170:171], -v[168:169]
	v_fma_f64 v[93:94], v[79:80], s[16:17], v[89:90]
	v_add_f64_e64 v[95:96], v[168:169], -v[170:171]
	ds_store_b64 v211, v[77:78] offset:8624
	v_add_f64_e64 v[77:78], v[166:167], -v[174:175]
	v_add_f64_e32 v[81:82], v[81:82], v[87:88]
	v_add_f64_e32 v[87:88], v[188:189], v[160:161]
	s_delay_alu instid0(VALU_DEP_3) | instskip(NEXT) | instid1(VALU_DEP_2)
	v_fma_f64 v[93:94], v[77:78], s[14:15], v[93:94]
	v_add_f64_e32 v[87:88], v[87:88], v[162:163]
	s_delay_alu instid0(VALU_DEP_2) | instskip(NEXT) | instid1(VALU_DEP_2)
	v_fma_f64 v[93:94], v[81:82], s[2:3], v[93:94]
	v_add_f64_e32 v[87:88], v[87:88], v[168:169]
	s_delay_alu instid0(VALU_DEP_1) | instskip(SKIP_3) | instid1(VALU_DEP_2)
	v_add_f64_e32 v[87:88], v[87:88], v[170:171]
	ds_store_2addr_b64 v213, v[87:88], v[93:94] offset1:77
	v_add_f64_e32 v[93:94], v[160:161], v[170:171]
	v_add_f64_e64 v[87:88], v[162:163], -v[160:161]
	v_fma_f64 v[93:94], v[93:94], -0.5, v[188:189]
	s_delay_alu instid0(VALU_DEP_2) | instskip(NEXT) | instid1(VALU_DEP_2)
	v_add_f64_e32 v[87:88], v[87:88], v[95:96]
	v_fma_f64 v[95:96], v[77:78], s[12:13], v[93:94]
	v_fma_f64 v[93:94], v[77:78], s[16:17], v[93:94]
	s_delay_alu instid0(VALU_DEP_2) | instskip(NEXT) | instid1(VALU_DEP_2)
	v_fma_f64 v[95:96], v[79:80], s[14:15], v[95:96]
	v_fma_f64 v[93:94], v[79:80], s[6:7], v[93:94]
	;; [unrolled: 1-line block ×3, first 2 shown]
	v_add_f64_e32 v[89:90], v[132:133], v[156:157]
	s_delay_alu instid0(VALU_DEP_4) | instskip(NEXT) | instid1(VALU_DEP_4)
	v_fma_f64 v[95:96], v[87:88], s[2:3], v[95:96]
	v_fma_f64 v[87:88], v[87:88], s[2:3], v[93:94]
	s_delay_alu instid0(VALU_DEP_4)
	v_fma_f64 v[77:78], v[77:78], s[6:7], v[79:80]
	v_add_f64_e64 v[79:80], v[140:141], -v[156:157]
	v_fma_f64 v[89:90], v[89:90], -0.5, v[60:61]
	ds_store_2addr_b64 v213, v[95:96], v[87:88] offset0:154 offset1:231
	v_fma_f64 v[77:78], v[81:82], s[2:3], v[77:78]
	v_add_f64_e64 v[81:82], v[150:151], -v[146:147]
	v_add_f64_e32 v[87:88], v[60:61], v[144:145]
	v_add_f64_e32 v[95:96], v[144:145], v[140:141]
	ds_store_b64 v213, v[77:78] offset:2464
	v_add_f64_e64 v[77:78], v[144:145], -v[132:133]
	v_add_f64_e32 v[87:88], v[87:88], v[132:133]
	v_fma_f64 v[93:94], v[81:82], s[16:17], v[89:90]
	v_fma_f64 v[60:61], v[95:96], -0.5, v[60:61]
	s_delay_alu instid0(VALU_DEP_4) | instskip(SKIP_2) | instid1(VALU_DEP_2)
	v_add_f64_e32 v[77:78], v[77:78], v[79:80]
	v_add_f64_e64 v[79:80], v[138:139], -v[158:159]
	v_add_f64_e32 v[87:88], v[87:88], v[156:157]
	v_fma_f64 v[93:94], v[79:80], s[14:15], v[93:94]
	s_delay_alu instid0(VALU_DEP_2) | instskip(NEXT) | instid1(VALU_DEP_2)
	v_add_f64_e32 v[87:88], v[87:88], v[140:141]
	v_fma_f64 v[93:94], v[77:78], s[2:3], v[93:94]
	ds_store_2addr_b64 v214, v[87:88], v[93:94] offset1:77
	v_add_f64_e64 v[87:88], v[132:133], -v[144:145]
	v_add_f64_e64 v[93:94], v[156:157], -v[140:141]
	s_delay_alu instid0(VALU_DEP_1) | instskip(SKIP_2) | instid1(VALU_DEP_2)
	v_add_f64_e32 v[87:88], v[87:88], v[93:94]
	v_fma_f64 v[93:94], v[79:80], s[12:13], v[60:61]
	v_fma_f64 v[60:61], v[79:80], s[16:17], v[60:61]
	v_fma_f64 v[93:94], v[81:82], s[14:15], v[93:94]
	s_delay_alu instid0(VALU_DEP_2) | instskip(NEXT) | instid1(VALU_DEP_2)
	v_fma_f64 v[60:61], v[81:82], s[6:7], v[60:61]
	v_fma_f64 v[93:94], v[87:88], s[2:3], v[93:94]
	s_delay_alu instid0(VALU_DEP_2) | instskip(SKIP_3) | instid1(VALU_DEP_2)
	v_fma_f64 v[60:61], v[87:88], s[2:3], v[60:61]
	ds_store_2addr_b64 v214, v[93:94], v[60:61] offset0:154 offset1:231
	v_fma_f64 v[60:61], v[81:82], s[12:13], v[89:90]
	v_add_f64_e64 v[81:82], v[120:121], -v[110:111]
	v_fma_f64 v[60:61], v[79:80], s[6:7], v[60:61]
	v_add_f64_e64 v[79:80], v[83:84], -v[91:92]
	s_delay_alu instid0(VALU_DEP_2) | instskip(SKIP_1) | instid1(VALU_DEP_3)
	v_fma_f64 v[60:61], v[77:78], s[2:3], v[60:61]
	v_add_f64_e32 v[77:78], v[83:84], v[120:121]
	v_add_f64_e32 v[79:80], v[79:80], v[81:82]
	v_add_f64_e64 v[81:82], v[106:107], -v[118:119]
	ds_store_b64 v214, v[60:61] offset:2464
	v_add_f64_e32 v[60:61], v[91:92], v[110:111]
	v_fma_f64 v[77:78], v[77:78], -0.5, v[62:63]
	s_delay_alu instid0(VALU_DEP_2) | instskip(SKIP_1) | instid1(VALU_DEP_2)
	v_fma_f64 v[60:61], v[60:61], -0.5, v[62:63]
	v_add_f64_e32 v[62:63], v[62:63], v[83:84]
	v_fma_f64 v[87:88], v[85:86], s[16:17], v[60:61]
	s_delay_alu instid0(VALU_DEP_2) | instskip(SKIP_1) | instid1(VALU_DEP_3)
	v_add_f64_e32 v[62:63], v[62:63], v[91:92]
	v_fma_f64 v[60:61], v[85:86], s[12:13], v[60:61]
	v_fma_f64 v[87:88], v[81:82], s[14:15], v[87:88]
	s_delay_alu instid0(VALU_DEP_3) | instskip(NEXT) | instid1(VALU_DEP_3)
	v_add_f64_e32 v[62:63], v[62:63], v[110:111]
	v_fma_f64 v[60:61], v[81:82], s[6:7], v[60:61]
	s_delay_alu instid0(VALU_DEP_3) | instskip(NEXT) | instid1(VALU_DEP_3)
	v_fma_f64 v[87:88], v[79:80], s[2:3], v[87:88]
	v_add_f64_e32 v[62:63], v[62:63], v[120:121]
	s_delay_alu instid0(VALU_DEP_3)
	v_fma_f64 v[60:61], v[79:80], s[2:3], v[60:61]
	ds_store_2addr_b64 v216, v[62:63], v[87:88] offset0:4 offset1:81
	v_add_f64_e64 v[62:63], v[91:92], -v[83:84]
	v_add_f64_e64 v[83:84], v[110:111], -v[120:121]
	ds_store_b64 v215, v[60:61] offset:14784
	v_add_f64_e32 v[62:63], v[62:63], v[83:84]
	v_fma_f64 v[83:84], v[81:82], s[12:13], v[77:78]
	v_fma_f64 v[77:78], v[81:82], s[16:17], v[77:78]
	s_delay_alu instid0(VALU_DEP_2) | instskip(NEXT) | instid1(VALU_DEP_2)
	v_fma_f64 v[83:84], v[85:86], s[14:15], v[83:84]
	v_fma_f64 v[77:78], v[85:86], s[6:7], v[77:78]
	s_delay_alu instid0(VALU_DEP_2) | instskip(NEXT) | instid1(VALU_DEP_2)
	v_fma_f64 v[83:84], v[62:63], s[2:3], v[83:84]
	v_fma_f64 v[62:63], v[62:63], s[2:3], v[77:78]
	ds_store_2addr_b64 v216, v[83:84], v[62:63] offset0:158 offset1:235
	global_wb scope:SCOPE_SE
	s_wait_dscnt 0x0
	s_barrier_signal -1
	s_barrier_wait -1
	global_inv scope:SCOPE_SE
	s_and_saveexec_b32 s0, vcc_lo
	s_cbranch_execz .LBB0_23
; %bb.22:
	v_lshlrev_b32_e32 v63, 2, v217
	v_add_nc_u32_e32 v231, 0x2800, v254
	s_delay_alu instid0(VALU_DEP_2) | instskip(SKIP_1) | instid1(VALU_DEP_1)
	v_lshlrev_b64_e32 v[60:61], 4, v[63:64]
	v_lshlrev_b32_e32 v63, 2, v245
	v_lshlrev_b64_e32 v[62:63], 4, v[63:64]
	s_delay_alu instid0(VALU_DEP_3) | instskip(SKIP_1) | instid1(VALU_DEP_4)
	v_add_co_u32 v60, vcc_lo, s4, v60
	s_wait_alu 0xfffd
	v_add_co_ci_u32_e32 v61, vcc_lo, s5, v61, vcc_lo
	s_clause 0x1
	global_load_b128 v[77:80], v[65:66], off offset:6064
	global_load_b128 v[81:84], v[60:61], off offset:6048
	v_add_co_u32 v125, vcc_lo, s4, v62
	s_clause 0x1
	global_load_b128 v[85:88], v[65:66], off offset:6096
	global_load_b128 v[89:92], v[60:61], off offset:6080
	s_wait_alu 0xfffd
	v_add_co_ci_u32_e32 v126, vcc_lo, s5, v63, vcc_lo
	s_clause 0x1
	global_load_b128 v[93:96], v[60:61], off offset:6096
	global_load_b128 v[97:100], v[125:126], off offset:6096
	v_lshlrev_b32_e32 v63, 2, v219
	s_clause 0x2
	global_load_b128 v[101:104], v[60:61], off offset:6064
	global_load_b128 v[105:108], v[125:126], off offset:6064
	;; [unrolled: 1-line block ×3, first 2 shown]
	v_lshlrev_b64_e32 v[60:61], 4, v[63:64]
	v_lshlrev_b32_e32 v63, 2, v255
	v_mov_b32_e32 v255, v217
	s_delay_alu instid0(VALU_DEP_3) | instskip(SKIP_1) | instid1(VALU_DEP_4)
	v_add_co_u32 v60, vcc_lo, s4, v60
	s_wait_alu 0xfffd
	v_add_co_ci_u32_e32 v61, vcc_lo, s5, v61, vcc_lo
	s_clause 0x3
	global_load_b128 v[113:116], v[60:61], off offset:6048
	global_load_b128 v[117:120], v[65:66], off offset:6048
	;; [unrolled: 1-line block ×4, first 2 shown]
	v_lshlrev_b64_e32 v[65:66], 4, v[63:64]
	s_clause 0x2
	global_load_b128 v[129:132], v[60:61], off offset:6096
	global_load_b128 v[133:136], v[60:61], off offset:6064
	global_load_b128 v[137:140], v[60:61], off offset:6080
	v_lshlrev_b32_e32 v63, 2, v252
	v_add_co_u32 v65, vcc_lo, s4, v65
	s_wait_alu 0xfffd
	v_add_co_ci_u32_e32 v66, vcc_lo, s5, v66, vcc_lo
	s_clause 0x3
	global_load_b128 v[141:144], v[65:66], off offset:6064
	global_load_b128 v[145:148], v[65:66], off offset:6048
	;; [unrolled: 1-line block ×4, first 2 shown]
	v_lshlrev_b64_e32 v[60:61], 4, v[63:64]
	v_lshlrev_b32_e32 v63, 2, v248
	s_delay_alu instid0(VALU_DEP_2) | instskip(SKIP_1) | instid1(VALU_DEP_3)
	v_add_co_u32 v65, vcc_lo, s4, v60
	s_wait_alu 0xfffd
	v_add_co_ci_u32_e32 v66, vcc_lo, s5, v61, vcc_lo
	s_delay_alu instid0(VALU_DEP_3)
	v_lshlrev_b64_e32 v[169:170], 4, v[63:64]
	s_clause 0x3
	global_load_b128 v[60:63], v[65:66], off offset:6064
	global_load_b128 v[157:160], v[65:66], off offset:6048
	;; [unrolled: 1-line block ×4, first 2 shown]
	v_add_nc_u32_e32 v66, 0x3800, v254
	v_add_co_u32 v64, vcc_lo, s4, v169
	s_wait_alu 0xfffd
	v_add_co_ci_u32_e32 v65, vcc_lo, s5, v170, vcc_lo
	s_clause 0x3
	global_load_b128 v[169:172], v[64:65], off offset:6048
	global_load_b128 v[173:176], v[64:65], off offset:6096
	;; [unrolled: 1-line block ×4, first 2 shown]
	v_add_nc_u32_e32 v64, 0x1400, v254
	ds_load_2addr_b64 v[193:196], v66 offset0:23 offset1:78
	v_add_nc_u32_e32 v66, 0x2000, v254
	ds_load_2addr_b64 v[185:188], v64 offset0:75 offset1:130
	v_add_nc_u32_e32 v64, 0x2c00, v254
	ds_load_2addr_b64 v[189:192], v64 offset0:77 offset1:132
	s_wait_loadcnt_dscnt 0x1b01
	v_mul_f64_e32 v[64:65], v[77:78], v[187:188]
	v_mul_f64_e32 v[197:198], v[79:80], v[187:188]
	s_wait_loadcnt 0x1a
	v_mul_f64_e32 v[199:200], v[81:82], v[185:186]
	v_mul_f64_e32 v[201:202], v[83:84], v[185:186]
	s_wait_loadcnt_dscnt 0x1900
	v_mul_f64_e32 v[203:204], v[85:86], v[191:192]
	v_mul_f64_e32 v[205:206], v[87:88], v[191:192]
	v_add_nc_u32_e32 v191, 0x1000, v254
	s_wait_loadcnt 0x18
	v_mul_f64_e32 v[207:208], v[89:90], v[189:190]
	v_mul_f64_e32 v[209:210], v[91:92], v[189:190]
	s_wait_loadcnt 0x17
	v_mul_f64_e32 v[211:212], v[93:94], v[195:196]
	v_mul_f64_e32 v[213:214], v[95:96], v[195:196]
	ds_load_2addr_b64 v[189:192], v191 offset0:93 offset1:148
	s_wait_loadcnt 0x16
	v_mul_f64_e32 v[215:216], v[97:98], v[193:194]
	v_mul_f64_e32 v[217:218], v[99:100], v[193:194]
	ds_load_2addr_b64 v[185:188], v66 offset0:21 offset1:76
	v_add_nc_u32_e32 v195, 0x800, v254
	ds_load_2addr_b64 v[193:196], v195 offset0:129 offset1:184
	s_wait_loadcnt_dscnt 0x1302
	v_mul_f64_e32 v[229:230], v[109:110], v[191:192]
	v_mul_f64_e32 v[191:192], v[111:112], v[191:192]
	s_wait_dscnt 0x1
	v_mul_f64_e32 v[219:220], v[101:102], v[187:188]
	v_mul_f64_e32 v[221:222], v[103:104], v[187:188]
	;; [unrolled: 1-line block ×4, first 2 shown]
	v_fma_f64 v[227:228], v[58:59], v[79:80], v[64:65]
	v_fma_f64 v[197:198], v[58:59], v[77:78], -v[197:198]
	v_fma_f64 v[199:200], v[56:57], v[83:84], v[199:200]
	v_fma_f64 v[201:202], v[56:57], v[81:82], -v[201:202]
	ds_load_2addr_b64 v[56:59], v231 offset0:95 offset1:150
	s_wait_loadcnt 0x12
	v_mul_f64_e32 v[231:232], v[113:114], v[189:190]
	v_mul_f64_e32 v[189:190], v[115:116], v[189:190]
	v_lshl_add_u32 v64, v246, 3, 0
	v_fma_f64 v[77:78], v[50:51], v[87:88], v[203:204]
	v_add_nc_u32_e32 v87, 0x1800, v254
	v_add_nc_u32_e32 v83, 0xc00, v254
	v_fma_f64 v[95:96], v[54:55], v[95:96], v[211:212]
	v_add_nc_u32_e32 v233, 0x800, v64
	v_fma_f64 v[64:65], v[50:51], v[85:86], -v[205:206]
	v_fma_f64 v[205:206], v[48:49], v[91:92], v[207:208]
	v_fma_f64 v[207:208], v[48:49], v[89:90], -v[209:210]
	v_fma_f64 v[211:212], v[54:55], v[93:94], -v[213:214]
	v_fma_f64 v[99:100], v[52:53], v[99:100], v[215:216]
	v_fma_f64 v[97:98], v[52:53], v[97:98], -v[217:218]
	ds_load_2addr_b64 v[48:51], v87 offset0:167 offset1:222
	ds_load_2addr_b64 v[52:55], v83 offset0:111 offset1:166
	;; [unrolled: 1-line block ×3, first 2 shown]
	v_add_nc_u32_e32 v66, 0x3000, v254
	s_wait_loadcnt_dscnt 0x1104
	v_mul_f64_e32 v[203:204], v[117:118], v[193:194]
	v_mul_f64_e32 v[193:194], v[119:120], v[193:194]
	v_add_nc_u32_e32 v84, 0x2400, v254
	s_wait_loadcnt_dscnt 0xf03
	v_mul_f64_e32 v[213:214], v[125:126], v[58:59]
	ds_load_2addr_b64 v[79:82], v66 offset0:169 offset1:224
	v_mul_f64_e32 v[58:59], v[127:128], v[58:59]
	ds_load_2addr_b64 v[83:86], v84 offset0:113 offset1:168
	v_fma_f64 v[111:112], v[42:43], v[111:112], v[229:230]
	v_fma_f64 v[42:43], v[42:43], v[109:110], -v[191:192]
	v_fma_f64 v[103:104], v[46:47], v[103:104], v[219:220]
	v_fma_f64 v[101:102], v[46:47], v[101:102], -v[221:222]
	;; [unrolled: 2-line block ×3, first 2 shown]
	ds_load_2addr_b64 v[44:47], v233 offset0:19 offset1:74
	ds_load_2addr_b64 v[87:90], v87 offset0:57 offset1:112
	;; [unrolled: 1-line block ×3, first 2 shown]
	s_wait_loadcnt_dscnt 0xa06
	v_mul_f64_e32 v[191:192], v[145:146], v[54:55]
	s_wait_dscnt 0x5
	v_mul_f64_e32 v[209:210], v[121:122], v[185:186]
	v_mul_f64_e32 v[185:186], v[123:124], v[185:186]
	v_fma_f64 v[109:110], v[40:41], v[115:116], v[231:232]
	v_fma_f64 v[40:41], v[40:41], v[113:114], -v[189:190]
	v_mul_f64_e32 v[113:114], v[133:134], v[50:51]
	v_mul_f64_e32 v[115:116], v[137:138], v[56:57]
	;; [unrolled: 1-line block ×3, first 2 shown]
	s_wait_dscnt 0x4
	v_mul_f64_e32 v[215:216], v[129:130], v[81:82]
	v_mul_f64_e32 v[81:82], v[131:132], v[81:82]
	;; [unrolled: 1-line block ×6, first 2 shown]
	v_fma_f64 v[119:120], v[4:5], v[119:120], v[203:204]
	v_fma_f64 v[117:118], v[4:5], v[117:118], -v[193:194]
	s_wait_loadcnt_dscnt 0x803
	v_mul_f64_e32 v[4:5], v[153:154], v[85:86]
	v_mul_f64_e32 v[193:194], v[149:150], v[79:80]
	;; [unrolled: 1-line block ×3, first 2 shown]
	v_fma_f64 v[127:128], v[38:39], v[127:128], v[213:214]
	v_fma_f64 v[38:39], v[38:39], v[125:126], -v[58:59]
	s_wait_loadcnt 0x5
	v_mul_f64_e32 v[58:59], v[161:162], v[83:84]
	s_wait_loadcnt_dscnt 0x400
	v_mul_f64_e32 v[125:126], v[165:166], v[93:94]
	v_mul_f64_e32 v[93:94], v[167:168], v[93:94]
	;; [unrolled: 1-line block ×3, first 2 shown]
	s_wait_loadcnt 0x3
	v_mul_f64_e32 v[203:204], v[169:170], v[195:196]
	v_mul_f64_e32 v[195:196], v[171:172], v[195:196]
	s_wait_loadcnt 0x1
	v_mul_f64_e32 v[213:214], v[177:178], v[87:88]
	v_mul_f64_e32 v[87:88], v[179:180], v[87:88]
	;; [unrolled: 1-line block ×3, first 2 shown]
	v_fma_f64 v[123:124], v[16:17], v[123:124], v[209:210]
	v_fma_f64 v[16:17], v[16:17], v[121:122], -v[185:186]
	v_mul_f64_e32 v[121:122], v[60:61], v[89:90]
	v_mul_f64_e32 v[185:186], v[157:158], v[52:53]
	v_fma_f64 v[113:114], v[30:31], v[135:136], v[113:114]
	v_fma_f64 v[115:116], v[36:37], v[139:140], v[115:116]
	v_fma_f64 v[30:31], v[30:31], v[133:134], -v[50:51]
	v_add_f64_e32 v[50:51], v[199:200], v[46:47]
	v_add_f64_e32 v[135:136], v[0:1], v[42:43]
	v_fma_f64 v[139:140], v[26:27], v[147:148], v[191:192]
	v_add_f64_e32 v[147:148], v[73:74], v[40:41]
	v_mul_f64_e32 v[52:53], v[159:160], v[52:53]
	v_mul_f64_e32 v[89:90], v[62:63], v[89:90]
	v_fma_f64 v[131:132], v[34:35], v[131:132], v[215:216]
	v_fma_f64 v[34:35], v[34:35], v[129:130], -v[81:82]
	ds_load_b64 v[81:82], v234
	ds_load_b64 v[129:130], v235
	v_add_f64_e32 v[133:134], v[2:3], v[201:202]
	v_mul_f64_e32 v[209:210], v[173:174], v[91:92]
	v_mul_f64_e32 v[91:92], v[175:176], v[91:92]
	s_wait_loadcnt 0x0
	v_mul_f64_e32 v[215:216], v[181:182], v[187:188]
	v_mul_f64_e32 v[187:188], v[183:184], v[187:188]
	v_fma_f64 v[36:37], v[36:37], v[137:138], -v[56:57]
	v_add_f64_e32 v[56:57], v[111:112], v[44:45]
	v_fma_f64 v[137:138], v[28:29], v[143:144], v[189:190]
	v_fma_f64 v[155:156], v[22:23], v[155:156], v[4:5]
	v_fma_f64 v[26:27], v[26:27], v[145:146], -v[54:55]
	v_fma_f64 v[28:29], v[28:29], v[141:142], -v[48:49]
	v_fma_f64 v[151:152], v[32:33], v[151:152], v[193:194]
	v_fma_f64 v[58:59], v[20:21], v[163:164], v[58:59]
	ds_load_b64 v[217:218], v254
	v_fma_f64 v[20:21], v[20:21], v[161:162], -v[83:84]
	v_add_f64_e32 v[189:190], v[42:43], v[97:98]
	v_add_f64_e32 v[191:192], v[105:106], v[38:39]
	v_fma_f64 v[22:23], v[22:23], v[153:154], -v[85:86]
	v_add_f64_e64 v[85:86], v[119:120], -v[227:228]
	s_wait_dscnt 0x1
	v_add_f64_e32 v[143:144], v[109:110], v[129:130]
	v_fma_f64 v[32:33], v[32:33], v[149:150], -v[79:80]
	v_add_f64_e32 v[145:146], v[117:118], v[64:65]
	v_add_f64_e64 v[79:80], v[123:124], -v[77:78]
	v_add_f64_e64 v[141:142], v[16:17], -v[64:65]
	v_fma_f64 v[48:49], v[10:11], v[62:63], v[121:122]
	v_fma_f64 v[54:55], v[24:25], v[159:160], v[185:186]
	;; [unrolled: 1-line block ×3, first 2 shown]
	v_fma_f64 v[14:15], v[14:15], v[165:166], -v[93:94]
	v_fma_f64 v[165:166], v[6:7], v[169:170], -v[195:196]
	v_add_f64_e32 v[4:5], v[103:104], v[50:51]
	v_add_f64_e32 v[135:136], v[105:106], v[135:136]
	v_fma_f64 v[50:51], v[8:9], v[179:180], v[213:214]
	v_add_f64_e32 v[147:148], v[30:31], v[147:148]
	v_fma_f64 v[24:25], v[24:25], v[157:158], -v[52:53]
	v_fma_f64 v[52:53], v[10:11], v[60:61], -v[89:90]
	v_add_f64_e32 v[179:180], v[107:108], v[127:128]
	v_add_f64_e32 v[185:186], v[201:202], v[211:212]
	v_add_f64_e64 v[60:61], v[227:228], -v[119:120]
	v_add_f64_e32 v[10:11], v[101:102], v[133:134]
	v_fma_f64 v[133:134], v[6:7], v[171:172], v[203:204]
	v_fma_f64 v[163:164], v[12:13], v[175:176], v[209:210]
	;; [unrolled: 1-line block ×3, first 2 shown]
	v_fma_f64 v[167:168], v[12:13], v[173:174], -v[91:92]
	v_fma_f64 v[12:13], v[8:9], v[177:178], -v[87:88]
	v_add_f64_e32 v[56:57], v[107:108], v[56:57]
	v_fma_f64 v[18:19], v[18:19], v[181:182], -v[187:188]
	v_add_f64_e32 v[6:7], v[199:200], v[95:96]
	v_add_f64_e32 v[8:9], v[103:104], v[205:206]
	;; [unrolled: 1-line block ×4, first 2 shown]
	v_add_f64_e64 v[89:90], v[77:78], -v[123:124]
	v_add_f64_e32 v[93:94], v[227:228], v[123:124]
	s_wait_dscnt 0x0
	v_add_f64_e32 v[121:122], v[119:120], v[217:218]
	v_add_f64_e64 v[125:126], v[197:198], -v[117:118]
	v_add_f64_e64 v[149:150], v[117:118], -v[197:198]
	;; [unrolled: 1-line block ×3, first 2 shown]
	v_add_f64_e32 v[157:158], v[197:198], v[16:17]
	v_add_f64_e32 v[143:144], v[113:114], v[143:144]
	;; [unrolled: 1-line block ×3, first 2 shown]
	v_add_f64_e64 v[87:88], v[103:104], -v[199:200]
	v_add_f64_e64 v[91:92], v[205:206], -v[95:96]
	;; [unrolled: 1-line block ×8, first 2 shown]
	v_add_f64_e32 v[4:5], v[205:206], v[4:5]
	v_add_f64_e32 v[135:136], v[135:136], v[38:39]
	v_add_f64_e64 v[103:104], v[103:104], -v[205:206]
	v_add_f64_e32 v[147:148], v[147:148], v[36:37]
	v_add_f64_e64 v[193:194], v[199:200], -v[95:96]
	v_add_f64_e64 v[101:102], v[201:202], -v[101:102]
	v_add_f64_e64 v[195:196], v[211:212], -v[207:208]
	v_add_f64_e64 v[199:200], v[107:108], -v[111:112]
	v_add_f64_e64 v[201:202], v[127:128], -v[99:100]
	v_add_f64_e32 v[10:11], v[10:11], v[207:208]
	v_add_f64_e64 v[203:204], v[42:43], -v[97:98]
	v_add_f64_e64 v[209:210], v[105:106], -v[38:39]
	v_add_f64_e64 v[205:206], v[111:112], -v[107:108]
	v_add_f64_e64 v[207:208], v[99:100], -v[127:128]
	;; [unrolled: 6-line block ×3, first 2 shown]
	v_add_f64_e64 v[105:106], v[113:114], -v[109:110]
	v_add_f64_e64 v[127:128], v[115:116], -v[131:132]
	;; [unrolled: 1-line block ×3, first 2 shown]
	v_add_f64_e32 v[221:222], v[109:110], v[131:132]
	v_add_f64_e64 v[223:224], v[30:31], -v[36:37]
	v_add_f64_e64 v[225:226], v[109:110], -v[113:114]
	v_fma_f64 v[229:230], v[6:7], -0.5, v[46:47]
	v_fma_f64 v[46:47], v[8:9], -0.5, v[46:47]
	v_add_f64_e32 v[143:144], v[115:116], v[143:144]
	v_fma_f64 v[177:178], v[177:178], -0.5, v[44:45]
	v_fma_f64 v[44:45], v[179:180], -0.5, v[44:45]
	v_add_f64_e64 v[179:180], v[131:132], -v[115:116]
	v_add_f64_e32 v[231:232], v[113:114], v[115:116]
	v_fma_f64 v[185:186], v[185:186], -0.5, v[2:3]
	v_fma_f64 v[187:188], v[187:188], -0.5, v[2:3]
	v_add_f64_e64 v[233:234], v[30:31], -v[40:41]
	v_add_f64_e64 v[235:236], v[36:37], -v[34:35]
	;; [unrolled: 1-line block ×3, first 2 shown]
	v_add_f64_e32 v[115:116], v[40:41], v[34:35]
	v_add_f64_e64 v[40:41], v[40:41], -v[30:31]
	v_add_f64_e32 v[30:31], v[30:31], v[36:37]
	v_add_f64_e64 v[36:37], v[34:35], -v[36:37]
	v_add_f64_e32 v[2:3], v[95:96], v[4:5]
	v_add_f64_e32 v[4:5], v[135:136], v[97:98]
	v_add_f64_e64 v[97:98], v[139:140], -v[137:138]
	v_add_f64_e32 v[8:9], v[147:148], v[34:35]
	v_add_f64_e64 v[34:35], v[151:152], -v[155:156]
	v_fma_f64 v[189:190], v[189:190], -0.5, v[0:1]
	v_fma_f64 v[191:192], v[191:192], -0.5, v[0:1]
	v_add_f64_e32 v[0:1], v[10:11], v[211:212]
	v_add_f64_e64 v[95:96], v[137:138], -v[139:140]
	v_add_f64_e64 v[211:212], v[155:156], -v[151:152]
	v_add_f64_e32 v[83:84], v[119:120], v[77:78]
	v_add_f64_e64 v[111:112], v[111:112], -v[99:100]
	v_add_f64_e64 v[109:110], v[109:110], -v[131:132]
	v_add_f64_e32 v[6:7], v[99:100], v[56:57]
	v_add_f64_e32 v[56:57], v[139:140], v[151:152]
	v_add_f64_e32 v[99:100], v[137:138], v[155:156]
	v_add_f64_e32 v[135:136], v[85:86], v[89:90]
	v_fma_f64 v[85:86], v[93:94], -0.5, v[217:218]
	v_add_f64_e32 v[89:90], v[26:27], v[32:33]
	v_add_f64_e64 v[93:94], v[26:27], -v[28:29]
	v_add_f64_e32 v[147:148], v[149:150], v[153:154]
	v_add_f64_e32 v[87:88], v[87:88], v[91:92]
	v_add_f64_e64 v[91:92], v[48:49], -v[54:55]
	v_add_f64_e32 v[149:150], v[173:174], v[175:176]
	v_add_f64_e32 v[10:11], v[131:132], v[143:144]
	;; [unrolled: 1-line block ×3, first 2 shown]
	v_add_f64_e64 v[60:61], v[28:29], -v[26:27]
	v_add_f64_e64 v[79:80], v[22:23], -v[32:33]
	v_add_f64_e32 v[143:144], v[125:126], v[141:142]
	v_add_f64_e64 v[125:126], v[32:33], -v[22:23]
	v_fma_f64 v[141:142], v[145:146], -0.5, v[75:76]
	v_fma_f64 v[75:76], v[157:158], -0.5, v[75:76]
	v_add_f64_e32 v[145:146], v[28:29], v[22:23]
	v_add_f64_e64 v[153:154], v[58:59], -v[62:63]
	v_add_f64_e32 v[157:158], v[181:182], v[183:184]
	v_add_f64_e32 v[173:174], v[54:55], v[62:63]
	v_add_f64_e32 v[101:102], v[101:102], v[195:196]
	v_add_f64_e64 v[175:176], v[54:55], -v[48:49]
	v_add_f64_e32 v[181:182], v[199:200], v[201:202]
	v_add_f64_e64 v[183:184], v[62:63], -v[58:59]
	v_add_f64_e32 v[195:196], v[205:206], v[207:208]
	v_add_f64_e32 v[199:200], v[48:49], v[58:59]
	v_add_f64_e32 v[201:202], v[213:214], v[215:216]
	v_add_f64_e64 v[205:206], v[52:53], -v[24:25]
	;; [unrolled: 6-line block ×3, first 2 shown]
	v_fma_f64 v[213:214], v[221:222], -0.5, v[129:130]
	v_add_f64_e64 v[215:216], v[14:15], -v[20:21]
	v_add_f64_e32 v[221:222], v[52:53], v[20:21]
	v_add_f64_e32 v[121:122], v[227:228], v[121:122]
	;; [unrolled: 1-line block ×4, first 2 shown]
	v_add_f64_e64 v[36:37], v[50:51], -v[133:134]
	v_fma_f64 v[40:41], v[115:116], -0.5, v[73:74]
	v_fma_f64 v[30:31], v[30:31], -0.5, v[73:74]
	v_add_f64_e64 v[73:74], v[161:162], -v[163:164]
	v_add_f64_e32 v[97:98], v[97:98], v[34:35]
	v_add_f64_e32 v[34:35], v[139:140], v[81:82]
	scratch_store_b128 off, v[0:3], off offset:16 ; 16-byte Folded Spill
	v_add_f64_e32 v[95:96], v[95:96], v[211:212]
	ds_load_b64 v[115:116], v238
	ds_load_b64 v[211:212], v237
	v_fma_f64 v[83:84], v[83:84], -0.5, v[217:218]
	v_fma_f64 v[129:130], v[231:232], -0.5, v[129:130]
	v_add_f64_e64 v[117:118], v[117:118], -v[64:65]
	v_add_f64_e64 v[197:198], v[197:198], -v[16:17]
	;; [unrolled: 1-line block ×3, first 2 shown]
	v_fma_f64 v[56:57], v[56:57], -0.5, v[81:82]
	v_fma_f64 v[81:82], v[99:100], -0.5, v[81:82]
	v_add_f64_e64 v[99:100], v[133:134], -v[50:51]
	v_add_f64_e32 v[60:61], v[60:61], v[79:80]
	v_add_f64_e64 v[79:80], v[163:164], -v[161:162]
	v_add_f64_e32 v[125:126], v[93:94], v[125:126]
	v_add_f64_e32 v[93:94], v[133:134], v[163:164]
	;; [unrolled: 1-line block ×4, first 2 shown]
	v_fma_f64 v[89:90], v[89:90], -0.5, v[71:72]
	v_fma_f64 v[145:146], v[145:146], -0.5, v[71:72]
	v_add_f64_e32 v[71:72], v[71:72], v[26:27]
	v_add_f64_e32 v[175:176], v[175:176], v[183:184]
	s_wait_dscnt 0x1
	v_add_f64_e32 v[183:184], v[54:55], v[115:116]
	v_fma_f64 v[173:174], v[173:174], -0.5, v[115:116]
	v_fma_f64 v[115:116], v[199:200], -0.5, v[115:116]
	v_add_f64_e32 v[199:200], v[69:70], v[24:25]
	v_add_f64_e32 v[205:206], v[205:206], v[38:39]
	v_add_f64_e64 v[38:39], v[12:13], -v[165:166]
	v_add_f64_e32 v[179:180], v[179:180], v[215:216]
	v_add_f64_e64 v[215:216], v[18:19], -v[167:168]
	v_fma_f64 v[42:43], v[42:43], -0.5, v[69:70]
	v_fma_f64 v[69:70], v[221:222], -0.5, v[69:70]
	v_add_f64_e64 v[221:222], v[165:166], -v[12:13]
	v_add_f64_e32 v[123:124], v[123:124], v[121:122]
	v_add_f64_e64 v[121:122], v[167:168], -v[18:19]
	v_add_f64_e32 v[159:160], v[159:160], v[16:17]
	v_add_f64_e32 v[16:17], v[165:166], v[167:168]
	;; [unrolled: 1-line block ×5, first 2 shown]
	v_add_f64_e64 v[73:74], v[119:120], -v[77:78]
	v_add_f64_e32 v[119:120], v[67:68], v[165:166]
	v_add_f64_e64 v[137:138], v[137:138], -v[155:156]
	v_add_f64_e32 v[217:218], v[233:234], v[235:236]
	v_add_f64_e64 v[26:27], v[26:27], -v[32:33]
	v_add_f64_e64 v[24:25], v[24:25], -v[14:15]
	;; [unrolled: 1-line block ×3, first 2 shown]
	v_add_f64_e32 v[79:80], v[99:100], v[79:80]
	s_wait_dscnt 0x0
	v_add_f64_e32 v[99:100], v[133:134], v[211:212]
	v_fma_f64 v[93:94], v[93:94], -0.5, v[211:212]
	v_add_f64_e64 v[133:134], v[133:134], -v[163:164]
	v_fma_f64 v[91:92], v[91:92], -0.5, v[211:212]
	v_add_f64_e32 v[71:72], v[28:29], v[71:72]
	v_add_f64_e64 v[28:29], v[28:29], -v[22:23]
	v_add_f64_e32 v[183:184], v[48:49], v[183:184]
	v_add_f64_e64 v[48:49], v[48:49], -v[58:59]
	;; [unrolled: 2-line block ×3, first 2 shown]
	v_add_f64_e32 v[211:212], v[38:39], v[215:216]
	v_fma_f64 v[38:39], v[197:198], s[16:17], v[83:84]
	v_fma_f64 v[83:84], v[197:198], s[12:13], v[83:84]
	v_add_f64_e32 v[215:216], v[221:222], v[121:122]
	v_fma_f64 v[121:122], v[117:118], s[12:13], v[85:86]
	v_fma_f64 v[85:86], v[117:118], s[16:17], v[85:86]
	v_fma_f64 v[16:17], v[16:17], -0.5, v[67:68]
	v_fma_f64 v[36:37], v[36:37], -0.5, v[67:68]
	v_fma_f64 v[66:67], v[227:228], s[12:13], v[141:142]
	v_fma_f64 v[141:142], v[227:228], s[16:17], v[141:142]
	v_add_f64_e32 v[34:35], v[155:156], v[34:35]
	v_fma_f64 v[155:156], v[73:74], s[16:17], v[75:76]
	v_fma_f64 v[75:76], v[73:74], s[12:13], v[75:76]
	v_add_f64_e32 v[119:120], v[12:13], v[119:120]
	v_fma_f64 v[221:222], v[171:172], s[12:13], v[229:230]
	v_add_f64_e64 v[12:13], v[12:13], -v[18:19]
	v_add_f64_e32 v[99:100], v[50:51], v[99:100]
	v_add_f64_e64 v[50:51], v[50:51], -v[161:162]
	v_add_f64_e32 v[22:23], v[71:72], v[22:23]
	v_fma_f64 v[71:72], v[171:172], s[16:17], v[229:230]
	v_add_f64_e32 v[58:59], v[58:59], v[183:184]
	v_fma_f64 v[183:184], v[169:170], s[12:13], v[46:47]
	v_fma_f64 v[46:47], v[169:170], s[16:17], v[46:47]
	v_add_f64_e32 v[20:21], v[199:200], v[20:21]
	v_fma_f64 v[199:200], v[103:104], s[12:13], v[185:186]
	v_fma_f64 v[185:186], v[103:104], s[16:17], v[185:186]
	;; [unrolled: 1-line block ×10, first 2 shown]
	v_add_f64_e64 v[121:122], v[165:166], -v[167:168]
	v_fma_f64 v[177:178], v[73:74], s[14:15], v[66:67]
	v_fma_f64 v[235:236], v[73:74], s[6:7], v[141:142]
	;; [unrolled: 1-line block ×3, first 2 shown]
	v_add_f64_e64 v[73:74], v[139:140], -v[151:152]
	v_fma_f64 v[139:140], v[227:228], s[14:15], v[155:156]
	v_fma_f64 v[155:156], v[227:228], s[6:7], v[75:76]
	;; [unrolled: 1-line block ×4, first 2 shown]
	v_add_f64_e32 v[189:190], v[119:120], v[18:19]
	v_fma_f64 v[18:19], v[223:224], s[16:17], v[213:214]
	v_fma_f64 v[119:120], v[223:224], s[12:13], v[213:214]
	v_fma_f64 v[165:166], v[111:112], s[12:13], v[191:192]
	v_fma_f64 v[44:45], v[203:204], s[16:17], v[44:45]
	v_add_f64_e32 v[99:100], v[161:162], v[99:100]
	v_fma_f64 v[161:162], v[111:112], s[16:17], v[191:192]
	v_fma_f64 v[191:192], v[169:170], s[6:7], v[71:72]
	;; [unrolled: 1-line block ×57, first 2 shown]
	v_add_f64_e32 v[66:67], v[22:23], v[32:33]
	v_fma_f64 v[32:33], v[201:202], s[2:3], v[75:76]
	v_add_f64_e32 v[74:75], v[159:160], v[64:65]
	scratch_load_b64 v[64:65], off, off offset:8 th:TH_LOAD_LU ; 8-byte Folded Reload
	v_fma_f64 v[89:90], v[133:134], s[16:17], v[36:37]
	v_fma_f64 v[36:37], v[133:134], s[12:13], v[36:37]
	v_add_f64_e32 v[81:82], v[163:164], v[99:100]
	v_fma_f64 v[141:142], v[137:138], s[14:15], v[141:142]
	v_fma_f64 v[137:138], v[137:138], s[6:7], v[145:146]
	v_mad_co_u64_u32 v[145:146], null, s8, v246, 0
	v_fma_f64 v[115:116], v[52:53], s[14:15], v[115:116]
	v_fma_f64 v[40:41], v[54:55], s[16:17], v[69:70]
	;; [unrolled: 1-line block ×3, first 2 shown]
	v_add_f64_e32 v[68:69], v[151:152], v[34:35]
	v_fma_f64 v[151:152], v[24:25], s[6:7], v[165:166]
	v_fma_f64 v[165:166], v[24:25], s[14:15], v[173:174]
	v_mov_b32_e32 v2, v146
	v_add_nc_u32_e32 v146, 0x181, v246
	v_add_f64_e32 v[76:77], v[77:78], v[123:124]
	v_add_nc_u32_e32 v78, 0x302, v246
	v_fma_f64 v[173:174], v[52:53], s[6:7], v[18:19]
	v_add_f64_e32 v[72:73], v[62:63], v[58:59]
	v_mad_co_u64_u32 v[123:124], null, s8, v146, 0
	v_fma_f64 v[247:248], v[121:122], s[6:7], v[30:31]
	v_fma_f64 v[121:122], v[121:122], s[14:15], v[93:94]
	;; [unrolled: 1-line block ×7, first 2 shown]
	v_mad_co_u64_u32 v[2:3], null, s9, v246, v[2:3]
	v_fma_f64 v[163:164], v[133:134], s[14:15], v[28:29]
	v_fma_f64 v[133:134], v[133:134], s[6:7], v[16:17]
	v_mov_b32_e32 v3, v124
	v_fma_f64 v[18:19], v[87:88], s[2:3], v[191:192]
	v_fma_f64 v[22:23], v[87:88], s[2:3], v[169:170]
	;; [unrolled: 1-line block ×19, first 2 shown]
	v_mad_co_u64_u32 v[147:148], null, s9, v146, v[3:4]
	v_mov_b32_e32 v146, v2
	v_fma_f64 v[243:244], v[48:49], s[6:7], v[70:71]
	v_add_f64_e32 v[70:71], v[20:21], v[14:15]
	v_fma_f64 v[14:15], v[149:150], s[2:3], v[183:184]
	v_fma_f64 v[26:27], v[149:150], s[2:3], v[46:47]
	;; [unrolled: 1-line block ×4, first 2 shown]
	v_mov_b32_e32 v124, v147
	v_fma_f64 v[97:98], v[153:154], s[2:3], v[151:152]
	v_fma_f64 v[101:102], v[153:154], s[2:3], v[165:166]
	;; [unrolled: 1-line block ×4, first 2 shown]
	v_add_f64_e32 v[79:80], v[189:190], v[167:168]
	v_lshlrev_b64_e32 v[123:124], 4, v[123:124]
	v_fma_f64 v[16:17], v[157:158], s[2:3], v[199:200]
	v_fma_f64 v[115:116], v[211:212], s[2:3], v[133:134]
	;; [unrolled: 1-line block ×4, first 2 shown]
	v_mad_co_u64_u32 v[143:144], null, s8, v78, 0
	v_fma_f64 v[20:21], v[157:158], s[2:3], v[185:186]
	v_fma_f64 v[36:37], v[201:202], s[2:3], v[111:112]
	;; [unrolled: 1-line block ×6, first 2 shown]
	v_mov_b32_e32 v2, v144
	v_lshlrev_b64_e32 v[144:145], 4, v[145:146]
	v_fma_f64 v[221:222], v[54:55], s[14:15], v[221:222]
	v_fma_f64 v[54:55], v[105:106], s[2:3], v[119:120]
	;; [unrolled: 1-line block ×3, first 2 shown]
	v_mad_co_u64_u32 v[2:3], null, s9, v78, v[2:3]
	v_add_nc_u32_e32 v78, 0x483, v246
	v_fma_f64 v[241:242], v[48:49], s[14:15], v[40:41]
	v_fma_f64 v[40:41], v[207:208], s[2:3], v[107:108]
	;; [unrolled: 1-line block ×4, first 2 shown]
	v_mad_co_u64_u32 v[146:147], null, s8, v78, 0
	v_fma_f64 v[107:108], v[179:180], s[2:3], v[243:244]
	v_fma_f64 v[89:90], v[95:96], s[2:3], v[223:224]
	;; [unrolled: 1-line block ×12, first 2 shown]
	s_wait_loadcnt 0x0
	v_add_co_u32 v64, vcc_lo, s10, v64
	s_wait_alu 0xfffd
	v_add_co_ci_u32_e32 v65, vcc_lo, s11, v65, vcc_lo
	s_delay_alu instid0(VALU_DEP_2) | instskip(SKIP_1) | instid1(VALU_DEP_2)
	v_add_co_u32 v148, vcc_lo, v64, v144
	s_wait_alu 0xfffd
	v_add_co_ci_u32_e32 v149, vcc_lo, v65, v145, vcc_lo
	v_dual_mov_b32 v144, v2 :: v_dual_add_nc_u32 v145, 0x604, v246
	v_dual_mov_b32 v2, v147 :: v_dual_add_nc_u32 v147, 55, v246
	v_add_co_u32 v154, vcc_lo, v64, v123
	s_delay_alu instid0(VALU_DEP_3) | instskip(NEXT) | instid1(VALU_DEP_3)
	v_mad_co_u64_u32 v[150:151], null, s8, v145, 0
	v_mad_co_u64_u32 v[152:153], null, s8, v147, 0
	s_wait_alu 0xfffd
	v_add_co_ci_u32_e32 v155, vcc_lo, v65, v124, vcc_lo
	v_lshlrev_b64_e32 v[123:124], 4, v[143:144]
	v_mad_co_u64_u32 v[2:3], null, s9, v78, v[2:3]
	s_delay_alu instid0(VALU_DEP_4) | instskip(NEXT) | instid1(VALU_DEP_3)
	v_dual_mov_b32 v3, v151 :: v_dual_mov_b32 v78, v153
	v_add_co_u32 v143, vcc_lo, v64, v123
	s_wait_alu 0xfffd
	s_delay_alu instid0(VALU_DEP_4) | instskip(NEXT) | instid1(VALU_DEP_3)
	v_add_co_ci_u32_e32 v144, vcc_lo, v65, v124, vcc_lo
	v_mad_co_u64_u32 v[156:157], null, s9, v145, v[3:4]
	v_mad_co_u64_u32 v[157:158], null, s9, v147, v[78:79]
	s_clause 0x2
	global_store_b128 v[148:149], v[74:77], off
	global_store_b128 v[154:155], v[139:142], off
	;; [unrolled: 1-line block ×3, first 2 shown]
	v_add_nc_u32_e32 v133, 0x1b8, v246
	v_dual_mov_b32 v147, v2 :: v_dual_add_nc_u32 v78, 0x339, v246
	v_mov_b32_e32 v151, v156
	v_fma_f64 v[123:124], v[215:216], s[2:3], v[0:1]
	s_delay_alu instid0(VALU_DEP_4) | instskip(NEXT) | instid1(VALU_DEP_4)
	v_mad_co_u64_u32 v[2:3], null, s8, v133, 0
	v_mad_co_u64_u32 v[131:132], null, s8, v78, 0
	v_lshlrev_b64_e32 v[0:1], 4, v[146:147]
	v_mov_b32_e32 v153, v157
	v_lshlrev_b64_e32 v[74:75], 4, v[150:151]
	v_mad_co_u64_u32 v[133:134], null, s9, v133, v[3:4]
	v_mov_b32_e32 v3, v132
	v_add_co_u32 v0, vcc_lo, v64, v0
	v_lshlrev_b64_e32 v[76:77], 4, v[152:153]
	s_wait_alu 0xfffd
	v_add_co_ci_u32_e32 v1, vcc_lo, v65, v1, vcc_lo
	v_add_co_u32 v74, vcc_lo, v64, v74
	v_mad_co_u64_u32 v[139:140], null, s9, v78, v[3:4]
	v_add_nc_u32_e32 v78, 0x4ba, v246
	s_wait_alu 0xfffd
	v_add_co_ci_u32_e32 v75, vcc_lo, v65, v75, vcc_lo
	v_add_co_u32 v76, vcc_lo, v64, v76
	s_wait_alu 0xfffd
	v_add_co_ci_u32_e32 v77, vcc_lo, v65, v77, vcc_lo
	v_mad_co_u64_u32 v[140:141], null, s8, v78, 0
	v_mov_b32_e32 v3, v133
	s_clause 0x2
	global_store_b128 v[0:1], v[127:130], off
	global_store_b128 v[74:75], v[135:138], off
	global_store_b128 v[76:77], v[79:82], off
	v_add_nc_u32_e32 v80, 0x63b, v246
	v_dual_mov_b32 v132, v139 :: v_dual_add_nc_u32 v127, 0x6e, v246
	v_lshlrev_b64_e32 v[0:1], 4, v[2:3]
	v_mov_b32_e32 v2, v141
	s_delay_alu instid0(VALU_DEP_4) | instskip(NEXT) | instid1(VALU_DEP_4)
	v_mad_co_u64_u32 v[74:75], null, s8, v80, 0
	v_lshlrev_b64_e32 v[76:77], 4, v[131:132]
	s_delay_alu instid0(VALU_DEP_3) | instskip(SKIP_1) | instid1(VALU_DEP_4)
	v_mad_co_u64_u32 v[2:3], null, s9, v78, v[2:3]
	v_mad_co_u64_u32 v[78:79], null, s8, v127, 0
	v_mov_b32_e32 v3, v75
	v_add_co_u32 v0, vcc_lo, v64, v0
	s_wait_alu 0xfffd
	v_add_co_ci_u32_e32 v1, vcc_lo, v65, v1, vcc_lo
	v_add_co_u32 v75, vcc_lo, v64, v76
	v_mov_b32_e32 v141, v2
	v_mad_co_u64_u32 v[2:3], null, s9, v80, v[3:4]
	v_mov_b32_e32 v3, v79
	s_wait_alu 0xfffd
	v_add_co_ci_u32_e32 v76, vcc_lo, v65, v77, vcc_lo
	s_clause 0x1
	global_store_b128 v[0:1], v[123:126], off
	global_store_b128 v[75:76], v[115:118], off
	v_mad_co_u64_u32 v[76:77], null, s9, v127, v[3:4]
	v_add_nc_u32_e32 v82, 0x1ef, v246
	v_lshlrev_b64_e32 v[0:1], 4, v[140:141]
	v_mov_b32_e32 v75, v2
	v_add_nc_u32_e32 v115, 0x370, v246
	v_mov_b32_e32 v79, v76
	v_mad_co_u64_u32 v[80:81], null, s8, v82, 0
	v_add_co_u32 v0, vcc_lo, v64, v0
	s_wait_alu 0xfffd
	v_add_co_ci_u32_e32 v1, vcc_lo, v65, v1, vcc_lo
	v_lshlrev_b64_e32 v[74:75], 4, v[74:75]
	v_mad_co_u64_u32 v[76:77], null, s8, v115, 0
	v_mov_b32_e32 v2, v81
	global_store_b128 v[0:1], v[111:114], off
	v_lshlrev_b64_e32 v[0:1], 4, v[78:79]
	v_add_co_u32 v74, vcc_lo, v64, v74
	v_mad_co_u64_u32 v[2:3], null, s9, v82, v[2:3]
	v_add_nc_u32_e32 v82, 0x4f1, v246
	s_wait_alu 0xfffd
	v_add_co_ci_u32_e32 v75, vcc_lo, v65, v75, vcc_lo
	v_add_nc_u32_e32 v111, 0x672, v246
	v_add_co_u32 v0, vcc_lo, v64, v0
	v_mov_b32_e32 v81, v2
	v_mad_co_u64_u32 v[78:79], null, s8, v82, 0
	v_mov_b32_e32 v2, v77
	global_store_b128 v[74:75], v[119:122], off
	v_lshlrev_b64_e32 v[74:75], 4, v[80:81]
	s_wait_alu 0xfffd
	v_add_co_ci_u32_e32 v1, vcc_lo, v65, v1, vcc_lo
	v_mov_b32_e32 v3, v79
	global_store_b128 v[0:1], v[70:73], off
	v_add_co_u32 v74, vcc_lo, v64, v74
	v_mad_co_u64_u32 v[79:80], null, s9, v115, v[2:3]
	v_mad_co_u64_u32 v[2:3], null, s9, v82, v[3:4]
	v_add_nc_u32_e32 v82, 0xa5, v246
	v_mad_co_u64_u32 v[80:81], null, s8, v111, 0
	s_wait_alu 0xfffd
	v_add_co_ci_u32_e32 v75, vcc_lo, v65, v75, vcc_lo
	v_mov_b32_e32 v77, v79
	v_mov_b32_e32 v79, v2
	v_mad_co_u64_u32 v[2:3], null, s8, v82, 0
	v_mov_b32_e32 v0, v81
	s_delay_alu instid0(VALU_DEP_4)
	v_lshlrev_b64_e32 v[70:71], 4, v[76:77]
	global_store_b128 v[74:75], v[107:110], off
	v_lshlrev_b64_e32 v[72:73], 4, v[78:79]
	v_add_nc_u32_e32 v78, 0x3a7, v246
	v_mad_co_u64_u32 v[0:1], null, s9, v111, v[0:1]
	v_mov_b32_e32 v1, v3
	v_add_co_u32 v70, vcc_lo, v64, v70
	s_wait_alu 0xfffd
	v_add_co_ci_u32_e32 v71, vcc_lo, v65, v71, vcc_lo
	s_delay_alu instid0(VALU_DEP_3)
	v_mad_co_u64_u32 v[74:75], null, s9, v82, v[1:2]
	v_add_co_u32 v72, vcc_lo, v64, v72
	v_add_nc_u32_e32 v76, 0x226, v246
	v_add_nc_u32_e32 v79, 0x528, v246
	s_wait_alu 0xfffd
	v_add_co_ci_u32_e32 v73, vcc_lo, v65, v73, vcc_lo
	v_mov_b32_e32 v3, v74
	v_mov_b32_e32 v81, v0
	v_mad_co_u64_u32 v[0:1], null, s8, v76, 0
	s_clause 0x1
	global_store_b128 v[70:71], v[99:102], off
	global_store_b128 v[72:73], v[95:98], off
	v_mad_co_u64_u32 v[72:73], null, s8, v78, 0
	v_mad_co_u64_u32 v[74:75], null, s8, v79, 0
	v_lshlrev_b64_e32 v[2:3], 4, v[2:3]
	v_lshlrev_b64_e32 v[70:71], 4, v[80:81]
	s_delay_alu instid0(VALU_DEP_2) | instskip(NEXT) | instid1(VALU_DEP_4)
	v_mad_co_u64_u32 v[76:77], null, s9, v76, v[1:2]
	v_mad_co_u64_u32 v[77:78], null, s9, v78, v[73:74]
	s_delay_alu instid0(VALU_DEP_3) | instskip(SKIP_1) | instid1(VALU_DEP_4)
	v_add_co_u32 v70, vcc_lo, v64, v70
	s_wait_alu 0xfffd
	v_add_co_ci_u32_e32 v71, vcc_lo, v65, v71, vcc_lo
	v_mov_b32_e32 v1, v75
	v_add_co_u32 v2, vcc_lo, v64, v2
	v_mov_b32_e32 v73, v77
	v_add_nc_u32_e32 v77, 0xdc, v246
	s_wait_alu 0xfffd
	v_add_co_ci_u32_e32 v3, vcc_lo, v65, v3, vcc_lo
	v_mad_co_u64_u32 v[78:79], null, s9, v79, v[1:2]
	v_mov_b32_e32 v1, v76
	v_mul_hi_u32 v76, 0x551c979b, v77
	s_clause 0x1
	global_store_b128 v[70:71], v[103:106], off
	global_store_b128 v[2:3], v[66:69], off
	v_lshlrev_b64_e32 v[2:3], 4, v[72:73]
	v_add_nc_u32_e32 v72, 0x6a9, v246
	v_lshlrev_b64_e32 v[0:1], 4, v[0:1]
	v_mov_b32_e32 v75, v78
	v_lshrrev_b32_e32 v70, 7, v76
	s_delay_alu instid0(VALU_DEP_4) | instskip(NEXT) | instid1(VALU_DEP_4)
	v_mad_co_u64_u32 v[66:67], null, s8, v72, 0
	v_add_co_u32 v0, vcc_lo, v64, v0
	s_delay_alu instid0(VALU_DEP_4) | instskip(NEXT) | instid1(VALU_DEP_4)
	v_lshlrev_b64_e32 v[68:69], 4, v[74:75]
	v_mad_u32_u24 v79, 0x604, v70, v77
	s_wait_alu 0xfffd
	v_add_co_ci_u32_e32 v1, vcc_lo, v65, v1, vcc_lo
	v_add_co_u32 v2, vcc_lo, v64, v2
	s_wait_alu 0xfffd
	v_add_co_ci_u32_e32 v3, vcc_lo, v65, v3, vcc_lo
	v_mad_co_u64_u32 v[70:71], null, s8, v79, 0
	v_add_co_u32 v68, vcc_lo, v64, v68
	v_add_nc_u32_e32 v80, 0x181, v79
	v_add_nc_u32_e32 v81, 0x302, v79
	s_wait_alu 0xfffd
	v_add_co_ci_u32_e32 v69, vcc_lo, v65, v69, vcc_lo
	v_mad_co_u64_u32 v[72:73], null, s9, v72, v[67:68]
	v_mov_b32_e32 v67, v71
	v_mad_co_u64_u32 v[73:74], null, s8, v80, 0
	s_clause 0x2
	global_store_b128 v[0:1], v[91:94], off
	global_store_b128 v[2:3], v[87:90], off
	;; [unrolled: 1-line block ×3, first 2 shown]
	v_mad_co_u64_u32 v[75:76], null, s8, v81, 0
	v_mad_co_u64_u32 v[77:78], null, s9, v79, v[67:68]
	v_dual_mov_b32 v67, v72 :: v_dual_mov_b32 v0, v74
	s_delay_alu instid0(VALU_DEP_3) | instskip(NEXT) | instid1(VALU_DEP_2)
	v_dual_mov_b32 v3, v76 :: v_dual_add_nc_u32 v78, 0x604, v79
	v_lshlrev_b64_e32 v[1:2], 4, v[66:67]
	s_delay_alu instid0(VALU_DEP_4) | instskip(SKIP_1) | instid1(VALU_DEP_3)
	v_mov_b32_e32 v71, v77
	v_add_nc_u32_e32 v77, 0x483, v79
	v_mad_co_u64_u32 v[66:67], null, s9, v80, v[0:1]
	v_mad_co_u64_u32 v[67:68], null, s9, v81, v[3:4]
	v_add_co_u32 v0, vcc_lo, v64, v1
	s_wait_alu 0xfffd
	v_add_co_ci_u32_e32 v1, vcc_lo, v65, v2, vcc_lo
	s_delay_alu instid0(VALU_DEP_4) | instskip(SKIP_3) | instid1(VALU_DEP_4)
	v_mov_b32_e32 v74, v66
	v_lshlrev_b64_e32 v[2:3], 4, v[70:71]
	v_mov_b32_e32 v76, v67
	v_mad_co_u64_u32 v[66:67], null, s8, v77, 0
	v_lshlrev_b64_e32 v[68:69], 4, v[73:74]
	v_mad_co_u64_u32 v[72:73], null, s8, v78, 0
	v_add_co_u32 v2, vcc_lo, v64, v2
	s_wait_alu 0xfffd
	v_add_co_ci_u32_e32 v3, vcc_lo, v65, v3, vcc_lo
	s_delay_alu instid0(VALU_DEP_4) | instskip(SKIP_3) | instid1(VALU_DEP_3)
	v_add_co_u32 v68, vcc_lo, v64, v68
	v_lshlrev_b64_e32 v[70:71], 4, v[75:76]
	s_wait_alu 0xfffd
	v_add_co_ci_u32_e32 v69, vcc_lo, v65, v69, vcc_lo
	v_mad_co_u64_u32 v[74:75], null, s9, v77, v[67:68]
	v_mov_b32_e32 v67, v73
	s_delay_alu instid0(VALU_DEP_4) | instskip(SKIP_2) | instid1(VALU_DEP_3)
	v_add_co_u32 v70, vcc_lo, v64, v70
	s_wait_alu 0xfffd
	v_add_co_ci_u32_e32 v71, vcc_lo, v65, v71, vcc_lo
	v_mad_co_u64_u32 v[75:76], null, s9, v78, v[67:68]
	v_mad_co_u64_u32 v[76:77], null, s8, v245, 0
	v_mov_b32_e32 v67, v74
	s_clause 0x3
	global_store_b128 v[0:1], v[60:63], off
	global_store_b128 v[2:3], v[8:11], off
	;; [unrolled: 1-line block ×4, first 2 shown]
	v_dual_mov_b32 v73, v75 :: v_dual_add_nc_u32 v52, 0x294, v246
	v_lshlrev_b64_e32 v[0:1], 4, v[66:67]
	v_mov_b32_e32 v2, v77
	s_delay_alu instid0(VALU_DEP_3) | instskip(NEXT) | instid1(VALU_DEP_4)
	v_mad_co_u64_u32 v[8:9], null, s8, v52, 0
	v_lshlrev_b64_e32 v[10:11], 4, v[72:73]
	s_delay_alu instid0(VALU_DEP_4) | instskip(NEXT) | instid1(VALU_DEP_4)
	v_add_co_u32 v0, vcc_lo, v64, v0
	v_mad_co_u64_u32 v[2:3], null, s9, v245, v[2:3]
	s_wait_alu 0xfffd
	v_add_co_ci_u32_e32 v1, vcc_lo, v65, v1, vcc_lo
	v_mov_b32_e32 v3, v9
	v_add_co_u32 v9, vcc_lo, v64, v10
	s_wait_alu 0xfffd
	v_add_co_ci_u32_e32 v10, vcc_lo, v65, v11, vcc_lo
	v_mov_b32_e32 v77, v2
	v_mad_co_u64_u32 v[2:3], null, s9, v52, v[3:4]
	v_add_nc_u32_e32 v52, 0x415, v246
	s_clause 0x1
	global_store_b128 v[0:1], v[44:47], off
	global_store_b128 v[9:10], v[48:51], off
	v_add_nc_u32_e32 v47, 0x596, v246
	v_lshlrev_b64_e32 v[0:1], 4, v[76:77]
	v_add_nc_u32_e32 v48, 0x717, v246
	v_mad_co_u64_u32 v[10:11], null, s8, v52, 0
	s_delay_alu instid0(VALU_DEP_4) | instskip(SKIP_4) | instid1(VALU_DEP_4)
	v_mad_co_u64_u32 v[44:45], null, s8, v47, 0
	v_mov_b32_e32 v9, v2
	v_add_co_u32 v0, vcc_lo, v64, v0
	s_wait_alu 0xfffd
	v_add_co_ci_u32_e32 v1, vcc_lo, v65, v1, vcc_lo
	v_dual_mov_b32 v2, v11 :: v_dual_mov_b32 v3, v45
	v_lshlrev_b64_e32 v[8:9], 4, v[8:9]
	global_store_b128 v[0:1], v[4:7], off
	v_mul_hi_u32 v49, 0x551c979b, v255
	v_mad_co_u64_u32 v[45:46], null, s9, v52, v[2:3]
	v_mad_co_u64_u32 v[2:3], null, s9, v47, v[3:4]
	;; [unrolled: 1-line block ×3, first 2 shown]
	v_add_co_u32 v8, vcc_lo, v64, v8
	s_delay_alu instid0(VALU_DEP_4) | instskip(SKIP_2) | instid1(VALU_DEP_4)
	v_mov_b32_e32 v11, v45
	s_wait_alu 0xfffd
	v_add_co_ci_u32_e32 v9, vcc_lo, v65, v9, vcc_lo
	v_dual_mov_b32 v45, v2 :: v_dual_mov_b32 v0, v47
	s_delay_alu instid0(VALU_DEP_3)
	v_lshlrev_b64_e32 v[1:2], 4, v[10:11]
	global_store_b128 v[8:9], v[40:43], off
	v_lshlrev_b64_e32 v[3:4], 4, v[44:45]
	v_mad_co_u64_u32 v[5:6], null, s9, v48, v[0:1]
	v_add_co_u32 v0, vcc_lo, v64, v1
	s_wait_alu 0xfffd
	v_add_co_ci_u32_e32 v1, vcc_lo, v65, v2, vcc_lo
	s_delay_alu instid0(VALU_DEP_4) | instskip(NEXT) | instid1(VALU_DEP_4)
	v_add_co_u32 v2, vcc_lo, v64, v3
	v_mov_b32_e32 v47, v5
	global_store_b128 v[0:1], v[36:39], off
	s_wait_alu 0xfffd
	v_add_co_ci_u32_e32 v3, vcc_lo, v65, v4, vcc_lo
	v_lshrrev_b32_e32 v6, 7, v49
	v_lshlrev_b64_e32 v[0:1], 4, v[46:47]
	global_store_b128 v[2:3], v[32:35], off
	v_mad_u32_u24 v40, 0x604, v6, v255
	v_add_co_u32 v0, vcc_lo, v64, v0
	s_wait_alu 0xfffd
	v_add_co_ci_u32_e32 v1, vcc_lo, v65, v1, vcc_lo
	s_delay_alu instid0(VALU_DEP_3)
	v_add_nc_u32_e32 v36, 0x604, v40
	v_add_nc_u32_e32 v32, 0x302, v40
	;; [unrolled: 1-line block ×3, first 2 shown]
	global_store_b128 v[0:1], v[28:31], off
	scratch_load_b128 v[28:31], off, off offset:16 th:TH_LOAD_LU ; 16-byte Folded Reload
	v_mad_co_u64_u32 v[4:5], null, s8, v40, 0
	v_mad_co_u64_u32 v[6:7], null, s8, v32, 0
	;; [unrolled: 1-line block ×3, first 2 shown]
	v_add_nc_u32_e32 v35, 0x483, v40
	s_delay_alu instid0(VALU_DEP_3) | instskip(NEXT) | instid1(VALU_DEP_3)
	v_mad_co_u64_u32 v[8:9], null, s9, v40, v[5:6]
	v_mad_co_u64_u32 v[9:10], null, s9, v10, v[3:4]
	v_mov_b32_e32 v3, v7
	s_delay_alu instid0(VALU_DEP_4) | instskip(NEXT) | instid1(VALU_DEP_4)
	v_mad_co_u64_u32 v[10:11], null, s8, v35, 0
	v_mov_b32_e32 v5, v8
	s_delay_alu instid0(VALU_DEP_3) | instskip(SKIP_1) | instid1(VALU_DEP_4)
	v_mad_co_u64_u32 v[32:33], null, s9, v32, v[3:4]
	v_mad_co_u64_u32 v[33:34], null, s8, v36, 0
	v_dual_mov_b32 v0, v11 :: v_dual_mov_b32 v3, v9
	s_delay_alu instid0(VALU_DEP_4) | instskip(NEXT) | instid1(VALU_DEP_4)
	v_lshlrev_b64_e32 v[4:5], 4, v[4:5]
	v_mov_b32_e32 v7, v32
	s_delay_alu instid0(VALU_DEP_3) | instskip(NEXT) | instid1(VALU_DEP_4)
	v_mad_co_u64_u32 v[0:1], null, s9, v35, v[0:1]
	v_lshlrev_b64_e32 v[2:3], 4, v[2:3]
	v_mov_b32_e32 v1, v34
	v_add_co_u32 v4, vcc_lo, v64, v4
	s_wait_alu 0xfffd
	v_add_co_ci_u32_e32 v5, vcc_lo, v65, v5, vcc_lo
	s_delay_alu instid0(VALU_DEP_3)
	v_mad_co_u64_u32 v[8:9], null, s9, v36, v[1:2]
	v_mov_b32_e32 v11, v0
	v_lshlrev_b64_e32 v[6:7], 4, v[6:7]
	v_add_co_u32 v0, vcc_lo, v64, v2
	s_wait_alu 0xfffd
	v_add_co_ci_u32_e32 v1, vcc_lo, v65, v3, vcc_lo
	v_mov_b32_e32 v34, v8
	v_lshlrev_b64_e32 v[2:3], 4, v[10:11]
	v_add_co_u32 v6, vcc_lo, v64, v6
	s_wait_alu 0xfffd
	v_add_co_ci_u32_e32 v7, vcc_lo, v65, v7, vcc_lo
	v_lshlrev_b64_e32 v[8:9], 4, v[33:34]
	s_delay_alu instid0(VALU_DEP_4) | instskip(SKIP_2) | instid1(VALU_DEP_3)
	v_add_co_u32 v2, vcc_lo, v64, v2
	s_wait_alu 0xfffd
	v_add_co_ci_u32_e32 v3, vcc_lo, v65, v3, vcc_lo
	v_add_co_u32 v8, vcc_lo, v64, v8
	s_wait_alu 0xfffd
	v_add_co_ci_u32_e32 v9, vcc_lo, v65, v9, vcc_lo
	s_wait_loadcnt 0x0
	s_clause 0x4
	global_store_b128 v[4:5], v[28:31], off
	global_store_b128 v[0:1], v[24:27], off
	;; [unrolled: 1-line block ×5, first 2 shown]
.LBB0_23:
	s_endpgm
	.section	.rodata,"a",@progbits
	.p2align	6, 0x0
	.amdhsa_kernel fft_rtc_fwd_len1925_factors_7_11_5_5_wgs_55_tpt_55_halfLds_dp_ip_CI_sbrr_dirReg
		.amdhsa_group_segment_fixed_size 0
		.amdhsa_private_segment_fixed_size 228
		.amdhsa_kernarg_size 88
		.amdhsa_user_sgpr_count 2
		.amdhsa_user_sgpr_dispatch_ptr 0
		.amdhsa_user_sgpr_queue_ptr 0
		.amdhsa_user_sgpr_kernarg_segment_ptr 1
		.amdhsa_user_sgpr_dispatch_id 0
		.amdhsa_user_sgpr_private_segment_size 0
		.amdhsa_wavefront_size32 1
		.amdhsa_uses_dynamic_stack 0
		.amdhsa_enable_private_segment 1
		.amdhsa_system_sgpr_workgroup_id_x 1
		.amdhsa_system_sgpr_workgroup_id_y 0
		.amdhsa_system_sgpr_workgroup_id_z 0
		.amdhsa_system_sgpr_workgroup_info 0
		.amdhsa_system_vgpr_workitem_id 0
		.amdhsa_next_free_vgpr 256
		.amdhsa_next_free_sgpr 38
		.amdhsa_reserve_vcc 1
		.amdhsa_float_round_mode_32 0
		.amdhsa_float_round_mode_16_64 0
		.amdhsa_float_denorm_mode_32 3
		.amdhsa_float_denorm_mode_16_64 3
		.amdhsa_fp16_overflow 0
		.amdhsa_workgroup_processor_mode 1
		.amdhsa_memory_ordered 1
		.amdhsa_forward_progress 0
		.amdhsa_round_robin_scheduling 0
		.amdhsa_exception_fp_ieee_invalid_op 0
		.amdhsa_exception_fp_denorm_src 0
		.amdhsa_exception_fp_ieee_div_zero 0
		.amdhsa_exception_fp_ieee_overflow 0
		.amdhsa_exception_fp_ieee_underflow 0
		.amdhsa_exception_fp_ieee_inexact 0
		.amdhsa_exception_int_div_zero 0
	.end_amdhsa_kernel
	.text
.Lfunc_end0:
	.size	fft_rtc_fwd_len1925_factors_7_11_5_5_wgs_55_tpt_55_halfLds_dp_ip_CI_sbrr_dirReg, .Lfunc_end0-fft_rtc_fwd_len1925_factors_7_11_5_5_wgs_55_tpt_55_halfLds_dp_ip_CI_sbrr_dirReg
                                        ; -- End function
	.section	.AMDGPU.csdata,"",@progbits
; Kernel info:
; codeLenInByte = 32608
; NumSgprs: 40
; NumVgprs: 256
; ScratchSize: 228
; MemoryBound: 1
; FloatMode: 240
; IeeeMode: 1
; LDSByteSize: 0 bytes/workgroup (compile time only)
; SGPRBlocks: 4
; VGPRBlocks: 31
; NumSGPRsForWavesPerEU: 40
; NumVGPRsForWavesPerEU: 256
; Occupancy: 5
; WaveLimiterHint : 1
; COMPUTE_PGM_RSRC2:SCRATCH_EN: 1
; COMPUTE_PGM_RSRC2:USER_SGPR: 2
; COMPUTE_PGM_RSRC2:TRAP_HANDLER: 0
; COMPUTE_PGM_RSRC2:TGID_X_EN: 1
; COMPUTE_PGM_RSRC2:TGID_Y_EN: 0
; COMPUTE_PGM_RSRC2:TGID_Z_EN: 0
; COMPUTE_PGM_RSRC2:TIDIG_COMP_CNT: 0
	.text
	.p2alignl 7, 3214868480
	.fill 96, 4, 3214868480
	.type	__hip_cuid_e0c1152daaa3c068,@object ; @__hip_cuid_e0c1152daaa3c068
	.section	.bss,"aw",@nobits
	.globl	__hip_cuid_e0c1152daaa3c068
__hip_cuid_e0c1152daaa3c068:
	.byte	0                               ; 0x0
	.size	__hip_cuid_e0c1152daaa3c068, 1

	.ident	"AMD clang version 19.0.0git (https://github.com/RadeonOpenCompute/llvm-project roc-6.4.0 25133 c7fe45cf4b819c5991fe208aaa96edf142730f1d)"
	.section	".note.GNU-stack","",@progbits
	.addrsig
	.addrsig_sym __hip_cuid_e0c1152daaa3c068
	.amdgpu_metadata
---
amdhsa.kernels:
  - .args:
      - .actual_access:  read_only
        .address_space:  global
        .offset:         0
        .size:           8
        .value_kind:     global_buffer
      - .offset:         8
        .size:           8
        .value_kind:     by_value
      - .actual_access:  read_only
        .address_space:  global
        .offset:         16
        .size:           8
        .value_kind:     global_buffer
      - .actual_access:  read_only
        .address_space:  global
        .offset:         24
        .size:           8
        .value_kind:     global_buffer
      - .offset:         32
        .size:           8
        .value_kind:     by_value
      - .actual_access:  read_only
        .address_space:  global
        .offset:         40
        .size:           8
        .value_kind:     global_buffer
      - .actual_access:  read_only
        .address_space:  global
        .offset:         48
        .size:           8
        .value_kind:     global_buffer
      - .offset:         56
        .size:           4
        .value_kind:     by_value
      - .actual_access:  read_only
        .address_space:  global
        .offset:         64
        .size:           8
        .value_kind:     global_buffer
      - .actual_access:  read_only
        .address_space:  global
        .offset:         72
        .size:           8
        .value_kind:     global_buffer
      - .address_space:  global
        .offset:         80
        .size:           8
        .value_kind:     global_buffer
    .group_segment_fixed_size: 0
    .kernarg_segment_align: 8
    .kernarg_segment_size: 88
    .language:       OpenCL C
    .language_version:
      - 2
      - 0
    .max_flat_workgroup_size: 55
    .name:           fft_rtc_fwd_len1925_factors_7_11_5_5_wgs_55_tpt_55_halfLds_dp_ip_CI_sbrr_dirReg
    .private_segment_fixed_size: 228
    .sgpr_count:     40
    .sgpr_spill_count: 0
    .symbol:         fft_rtc_fwd_len1925_factors_7_11_5_5_wgs_55_tpt_55_halfLds_dp_ip_CI_sbrr_dirReg.kd
    .uniform_work_group_size: 1
    .uses_dynamic_stack: false
    .vgpr_count:     256
    .vgpr_spill_count: 58
    .wavefront_size: 32
    .workgroup_processor_mode: 1
amdhsa.target:   amdgcn-amd-amdhsa--gfx1201
amdhsa.version:
  - 1
  - 2
...

	.end_amdgpu_metadata
